;; amdgpu-corpus repo=ROCm/rocFFT kind=compiled arch=gfx1100 opt=O3
	.text
	.amdgcn_target "amdgcn-amd-amdhsa--gfx1100"
	.amdhsa_code_object_version 6
	.protected	bluestein_single_back_len1815_dim1_dp_op_CI_CI ; -- Begin function bluestein_single_back_len1815_dim1_dp_op_CI_CI
	.globl	bluestein_single_back_len1815_dim1_dp_op_CI_CI
	.p2align	8
	.type	bluestein_single_back_len1815_dim1_dp_op_CI_CI,@function
bluestein_single_back_len1815_dim1_dp_op_CI_CI: ; @bluestein_single_back_len1815_dim1_dp_op_CI_CI
; %bb.0:
	s_load_b128 s[16:19], s[0:1], 0x28
	v_mul_u32_u24_e32 v1, 0x18e, v0
	s_mov_b32 s2, exec_lo
	v_mov_b32_e32 v8, 0
	s_delay_alu instid0(VALU_DEP_2) | instskip(NEXT) | instid1(VALU_DEP_1)
	v_lshrrev_b32_e32 v1, 16, v1
	v_add_nc_u32_e32 v7, s15, v1
	s_waitcnt lgkmcnt(0)
	s_delay_alu instid0(VALU_DEP_1)
	v_cmpx_gt_u64_e64 s[16:17], v[7:8]
	s_cbranch_execz .LBB0_18
; %bb.1:
	s_clause 0x1
	s_load_b128 s[4:7], s[0:1], 0x18
	s_load_b128 s[8:11], s[0:1], 0x0
	v_mul_lo_u16 v1, 0xa5, v1
	s_mov_b32 s24, 0xf8bb580b
	s_mov_b32 s25, 0xbfe14ced
	;; [unrolled: 1-line block ×4, first 2 shown]
	v_sub_nc_u16 v0, v0, v1
	s_mov_b32 s22, 0xbb3a28a1
	s_mov_b32 s23, 0xbfe82f19
	;; [unrolled: 1-line block ×4, first 2 shown]
	v_and_b32_e32 v40, 0xffff, v0
	s_mov_b32 s29, 0x3fe14ced
	s_mov_b32 s28, s24
	v_mov_b32_e32 v16, v7
	s_mov_b32 s31, 0x3fd207e7
	v_lshlrev_b32_e32 v255, 4, v40
	s_mov_b32 s30, s26
	s_mov_b32 s16, 0x9bcd5057
	s_waitcnt lgkmcnt(0)
	s_load_b128 s[12:15], s[4:5], 0x0
	s_clause 0x1
	global_load_b128 v[32:35], v255, s[8:9]
	global_load_b128 v[36:39], v255, s[8:9] offset:2640
	v_add_co_u32 v8, s2, s8, v255
	s_delay_alu instid0(VALU_DEP_1)
	v_add_co_ci_u32_e64 v9, null, s9, 0, s2
	scratch_store_b64 off, v[16:17], off offset:84 ; 8-byte Folded Spill
	v_add_co_u32 v1, vcc_lo, 0x1000, v8
	v_add_co_ci_u32_e32 v2, vcc_lo, 0, v9, vcc_lo
	v_add_co_u32 v5, vcc_lo, 0x2000, v8
	v_add_co_ci_u32_e32 v6, vcc_lo, 0, v9, vcc_lo
	;; [unrolled: 2-line block ×3, first 2 shown]
	s_waitcnt lgkmcnt(0)
	v_mad_u64_u32 v[3:4], null, s14, v7, 0
	v_mad_u64_u32 v[12:13], null, s12, v40, 0
	v_add_co_u32 v14, vcc_lo, 0x4000, v8
	v_add_co_ci_u32_e32 v15, vcc_lo, 0, v9, vcc_lo
	s_delay_alu instid0(VALU_DEP_4) | instskip(NEXT) | instid1(VALU_DEP_4)
	v_mad_u64_u32 v[16:17], null, s15, v7, v[4:5]
	v_mov_b32_e32 v4, v13
	v_add_co_u32 v17, vcc_lo, 0x5000, v8
	s_clause 0x1
	global_load_b128 v[108:111], v[1:2], off offset:1184
	global_load_b128 v[104:107], v[1:2], off offset:3824
	v_add_co_ci_u32_e32 v18, vcc_lo, 0, v9, vcc_lo
	v_mad_u64_u32 v[19:20], null, s13, v40, v[4:5]
	v_mov_b32_e32 v4, v16
	v_add_co_u32 v20, vcc_lo, 0x6000, v8
	v_add_co_ci_u32_e32 v21, vcc_lo, 0, v9, vcc_lo
	s_delay_alu instid0(VALU_DEP_3)
	v_lshlrev_b64 v[1:2], 4, v[3:4]
	v_mov_b32_e32 v13, v19
	s_mul_i32 s2, s13, 0xa50
	s_mul_hi_u32 s3, s12, 0xa50
	s_mul_i32 s4, s12, 0xa50
	global_load_b128 v[112:115], v[5:6], off offset:2368
	v_lshlrev_b64 v[3:4], 4, v[12:13]
	v_add_co_u32 v1, vcc_lo, s18, v1
	v_add_co_ci_u32_e32 v2, vcc_lo, s19, v2, vcc_lo
	s_add_i32 s3, s3, s2
	s_delay_alu instid0(VALU_DEP_2) | instskip(NEXT) | instid1(VALU_DEP_2)
	v_add_co_u32 v1, vcc_lo, v1, v3
	v_add_co_ci_u32_e32 v2, vcc_lo, v2, v4, vcc_lo
	s_clause 0x1
	global_load_b128 v[120:123], v[10:11], off offset:912
	global_load_b128 v[116:119], v[10:11], off offset:3552
	v_add_co_u32 v5, vcc_lo, v1, s4
	v_add_co_ci_u32_e32 v6, vcc_lo, s3, v2, vcc_lo
	global_load_b128 v[124:127], v[14:15], off offset:2096
	v_add_co_u32 v10, vcc_lo, v5, s4
	v_add_co_ci_u32_e32 v11, vcc_lo, s3, v6, vcc_lo
	s_clause 0x1
	global_load_b128 v[1:4], v[1:2], off
	global_load_b128 v[44:47], v[5:6], off
	v_add_co_u32 v12, vcc_lo, v10, s4
	v_add_co_ci_u32_e32 v13, vcc_lo, s3, v11, vcc_lo
	global_load_b128 v[48:51], v[10:11], off
	v_add_co_u32 v5, vcc_lo, v12, s4
	v_add_co_ci_u32_e32 v6, vcc_lo, s3, v13, vcc_lo
	s_clause 0x1
	global_load_b128 v[52:55], v[12:13], off
	global_load_b128 v[56:59], v[5:6], off
	v_add_co_u32 v10, vcc_lo, v5, s4
	v_add_co_ci_u32_e32 v11, vcc_lo, s3, v6, vcc_lo
	s_mov_b32 s19, 0xbfed1bb4
	s_delay_alu instid0(VALU_DEP_2) | instskip(NEXT) | instid1(VALU_DEP_2)
	v_add_co_u32 v5, vcc_lo, v10, s4
	v_add_co_ci_u32_e32 v6, vcc_lo, s3, v11, vcc_lo
	global_load_b128 v[60:63], v[10:11], off
	v_add_co_u32 v10, vcc_lo, v5, s4
	v_add_co_ci_u32_e32 v11, vcc_lo, s3, v6, vcc_lo
	global_load_b128 v[64:67], v[5:6], off
	;; [unrolled: 3-line block ×4, first 2 shown]
	v_add_co_u32 v5, vcc_lo, v10, s4
	v_add_co_ci_u32_e32 v6, vcc_lo, s3, v11, vcc_lo
	s_clause 0x1
	global_load_b128 v[132:135], v[17:18], off offset:640
	global_load_b128 v[128:131], v[17:18], off offset:3280
	global_load_b128 v[76:79], v[10:11], off
	global_load_b128 v[136:139], v[20:21], off offset:1824
	global_load_b128 v[80:83], v[5:6], off
	s_load_b128 s[4:7], s[6:7], 0x0
	s_mov_b32 s18, 0x8eee2c13
	s_mov_b32 s2, 0x8764f0ba
	;; [unrolled: 1-line block ×12, first 2 shown]
	s_waitcnt vmcnt(21)
	scratch_store_b128 off, v[32:35], off offset:48 ; 16-byte Folded Spill
	s_waitcnt vmcnt(20)
	scratch_store_b128 off, v[36:39], off offset:64 ; 16-byte Folded Spill
	;; [unrolled: 2-line block ×8, first 2 shown]
	s_waitcnt vmcnt(13)
	v_mul_f64 v[5:6], v[3:4], v[34:35]
	v_mul_f64 v[10:11], v[1:2], v[34:35]
	s_waitcnt vmcnt(12)
	v_mul_f64 v[12:13], v[46:47], v[38:39]
	v_mul_f64 v[14:15], v[44:45], v[38:39]
	;; [unrolled: 3-line block ×8, first 2 shown]
	v_fma_f64 v[1:2], v[1:2], v[32:33], v[5:6]
	s_waitcnt vmcnt(4)
	v_mul_f64 v[92:93], v[74:75], v[134:135]
	v_mul_f64 v[94:95], v[72:73], v[134:135]
	s_waitcnt vmcnt(2)
	v_mul_f64 v[96:97], v[78:79], v[130:131]
	v_mul_f64 v[98:99], v[76:77], v[130:131]
	s_waitcnt vmcnt(0)
	v_mul_f64 v[100:101], v[82:83], v[138:139]
	v_mul_f64 v[102:103], v[80:81], v[138:139]
	v_fma_f64 v[3:4], v[3:4], v[32:33], -v[10:11]
	v_fma_f64 v[44:45], v[44:45], v[36:37], v[12:13]
	v_fma_f64 v[46:47], v[46:47], v[36:37], -v[14:15]
	v_fma_f64 v[48:49], v[48:49], v[108:109], v[16:17]
	;; [unrolled: 2-line block ×4, first 2 shown]
	v_fma_f64 v[58:59], v[58:59], v[112:113], -v[26:27]
	s_clause 0x2
	scratch_store_b128 off, v[132:135], off offset:204
	scratch_store_b128 off, v[128:131], off offset:188
	;; [unrolled: 1-line block ×3, first 2 shown]
	v_fma_f64 v[60:61], v[60:61], v[120:121], v[28:29]
	v_fma_f64 v[62:63], v[62:63], v[120:121], -v[30:31]
	v_fma_f64 v[64:65], v[64:65], v[116:117], v[84:85]
	v_fma_f64 v[66:67], v[66:67], v[116:117], -v[86:87]
	;; [unrolled: 2-line block ×6, first 2 shown]
	ds_store_b128 v255, v[1:4]
	ds_store_b128 v255, v[44:47] offset:2640
	ds_store_b128 v255, v[48:51] offset:5280
	ds_store_b128 v255, v[52:55] offset:7920
	ds_store_b128 v255, v[56:59] offset:10560
	ds_store_b128 v255, v[60:63] offset:13200
	ds_store_b128 v255, v[64:67] offset:15840
	ds_store_b128 v255, v[68:71] offset:18480
	ds_store_b128 v255, v[72:75] offset:21120
	ds_store_b128 v255, v[76:79] offset:23760
	ds_store_b128 v255, v[80:83] offset:26400
	s_waitcnt lgkmcnt(0)
	s_waitcnt_vscnt null, 0x0
	s_barrier
	buffer_gl0_inv
	ds_load_b128 v[48:51], v255
	ds_load_b128 v[1:4], v255 offset:2640
	ds_load_b128 v[44:47], v255 offset:26400
	;; [unrolled: 1-line block ×10, first 2 shown]
	s_waitcnt lgkmcnt(0)
	s_barrier
	buffer_gl0_inv
	v_add_f64 v[5:6], v[48:49], v[1:2]
	v_add_f64 v[10:11], v[50:51], v[3:4]
	v_add_f64 v[12:13], v[3:4], -v[46:47]
	v_add_f64 v[14:15], v[1:2], -v[44:45]
	;; [unrolled: 1-line block ×4, first 2 shown]
	v_add_f64 v[1:2], v[1:2], v[44:45]
	v_add_f64 v[3:4], v[3:4], v[46:47]
	v_add_f64 v[92:93], v[80:81], -v[64:65]
	v_add_f64 v[20:21], v[74:75], -v[58:59]
	;; [unrolled: 1-line block ×3, first 2 shown]
	v_add_f64 v[24:25], v[68:69], v[52:53]
	v_add_f64 v[26:27], v[70:71], v[54:55]
	v_add_f64 v[84:85], v[76:77], -v[60:61]
	v_add_f64 v[86:87], v[78:79], v[62:63]
	v_add_f64 v[28:29], v[72:73], v[56:57]
	;; [unrolled: 1-line block ×3, first 2 shown]
	v_add_f64 v[94:95], v[82:83], -v[66:67]
	v_add_f64 v[88:89], v[80:81], v[64:65]
	v_add_f64 v[90:91], v[82:83], v[66:67]
	;; [unrolled: 1-line block ×4, first 2 shown]
	v_mul_f64 v[96:97], v[12:13], s[24:25]
	v_mul_f64 v[98:99], v[14:15], s[24:25]
	;; [unrolled: 1-line block ×12, first 2 shown]
	s_mov_b32 s19, 0x3fed1bb4
	v_add_f64 v[68:69], v[76:77], v[60:61]
	v_add_f64 v[70:71], v[78:79], -v[62:63]
	v_mul_f64 v[116:117], v[16:17], s[22:23]
	v_mul_f64 v[118:119], v[18:19], s[22:23]
	;; [unrolled: 1-line block ×21, first 2 shown]
	v_add_f64 v[5:6], v[5:6], v[72:73]
	v_add_f64 v[10:11], v[10:11], v[74:75]
	v_mul_f64 v[72:73], v[16:17], s[30:31]
	v_mul_f64 v[74:75], v[18:19], s[30:31]
	v_fma_f64 v[172:173], v[1:2], s[8:9], -v[100:101]
	v_fma_f64 v[174:175], v[3:4], s[8:9], v[102:103]
	v_fma_f64 v[100:101], v[1:2], s[8:9], v[100:101]
	v_fma_f64 v[176:177], v[1:2], s[12:13], -v[104:105]
	v_fma_f64 v[178:179], v[3:4], s[12:13], v[106:107]
	v_fma_f64 v[104:105], v[1:2], s[12:13], v[104:105]
	v_fma_f64 v[180:181], v[1:2], s[14:15], -v[108:109]
	v_fma_f64 v[182:183], v[3:4], s[14:15], v[110:111]
	v_mul_f64 v[16:17], v[16:17], s[28:29]
	v_mul_f64 v[18:19], v[18:19], s[28:29]
	v_fma_f64 v[108:109], v[1:2], s[14:15], v[108:109]
	v_fma_f64 v[184:185], v[1:2], s[16:17], -v[12:13]
	v_fma_f64 v[186:187], v[3:4], s[16:17], v[14:15]
	v_fma_f64 v[102:103], v[3:4], s[8:9], -v[102:103]
	v_fma_f64 v[106:107], v[3:4], s[12:13], -v[106:107]
	;; [unrolled: 1-line block ×4, first 2 shown]
	v_fma_f64 v[190:191], v[26:27], s[14:15], v[118:119]
	v_fma_f64 v[116:117], v[24:25], s[14:15], v[116:117]
	v_fma_f64 v[196:197], v[24:25], s[12:13], -v[120:121]
	v_fma_f64 v[198:199], v[26:27], s[12:13], v[122:123]
	v_fma_f64 v[120:121], v[24:25], s[12:13], v[120:121]
	v_fma_f64 v[118:119], v[26:27], s[14:15], -v[118:119]
	v_mul_f64 v[140:141], v[70:71], s[22:23]
	v_mul_f64 v[144:145], v[70:71], s[34:35]
	;; [unrolled: 1-line block ×8, first 2 shown]
	v_fma_f64 v[200:201], v[28:29], s[16:17], -v[128:129]
	v_fma_f64 v[202:203], v[30:31], s[16:17], v[130:131]
	v_fma_f64 v[128:129], v[28:29], s[16:17], v[128:129]
	v_add_f64 v[5:6], v[5:6], v[76:77]
	v_add_f64 v[10:11], v[10:11], v[78:79]
	v_mul_f64 v[76:77], v[92:93], s[18:19]
	v_fma_f64 v[78:79], v[1:2], s[2:3], -v[96:97]
	v_fma_f64 v[92:93], v[3:4], s[2:3], v[98:99]
	v_fma_f64 v[96:97], v[1:2], s[2:3], v[96:97]
	v_fma_f64 v[98:99], v[3:4], s[2:3], -v[98:99]
	v_fma_f64 v[1:2], v[1:2], s[16:17], v[12:13]
	v_fma_f64 v[3:4], v[3:4], s[16:17], -v[14:15]
	v_fma_f64 v[12:13], v[24:25], s[8:9], -v[112:113]
	v_fma_f64 v[14:15], v[26:27], s[8:9], v[114:115]
	v_fma_f64 v[112:113], v[24:25], s[8:9], v[112:113]
	v_fma_f64 v[114:115], v[26:27], s[8:9], -v[114:115]
	v_add_f64 v[172:173], v[48:49], v[172:173]
	v_add_f64 v[174:175], v[50:51], v[174:175]
	v_fma_f64 v[192:193], v[24:25], s[16:17], -v[72:73]
	v_fma_f64 v[194:195], v[26:27], s[16:17], v[74:75]
	v_add_f64 v[100:101], v[48:49], v[100:101]
	v_add_f64 v[176:177], v[48:49], v[176:177]
	;; [unrolled: 1-line block ×3, first 2 shown]
	v_fma_f64 v[72:73], v[24:25], s[16:17], v[72:73]
	v_add_f64 v[104:105], v[48:49], v[104:105]
	v_add_f64 v[180:181], v[48:49], v[180:181]
	;; [unrolled: 1-line block ×6, first 2 shown]
	v_fma_f64 v[74:75], v[26:27], s[16:17], -v[74:75]
	v_add_f64 v[106:107], v[50:51], v[106:107]
	v_add_f64 v[102:103], v[50:51], v[102:103]
	v_fma_f64 v[130:131], v[30:31], s[16:17], -v[130:131]
	v_fma_f64 v[204:205], v[28:29], s[2:3], -v[132:133]
	v_fma_f64 v[206:207], v[30:31], s[2:3], v[134:135]
	v_fma_f64 v[132:133], v[28:29], s[2:3], v[132:133]
	v_fma_f64 v[134:135], v[30:31], s[2:3], -v[134:135]
	v_fma_f64 v[212:213], v[28:29], s[8:9], -v[20:21]
	v_fma_f64 v[20:21], v[28:29], s[8:9], v[20:21]
	v_mul_f64 v[160:161], v[94:95], s[28:29]
	v_add_f64 v[5:6], v[5:6], v[80:81]
	v_add_f64 v[10:11], v[10:11], v[82:83]
	v_fma_f64 v[80:81], v[26:27], s[12:13], -v[122:123]
	v_add_f64 v[78:79], v[48:49], v[78:79]
	v_fma_f64 v[82:83], v[24:25], s[2:3], -v[16:17]
	v_add_f64 v[96:97], v[48:49], v[96:97]
	v_add_f64 v[98:99], v[50:51], v[98:99]
	v_fma_f64 v[122:123], v[26:27], s[2:3], v[18:19]
	v_fma_f64 v[16:17], v[24:25], s[2:3], v[16:17]
	v_fma_f64 v[18:19], v[26:27], s[2:3], -v[18:19]
	v_add_f64 v[1:2], v[48:49], v[1:2]
	v_add_f64 v[3:4], v[50:51], v[3:4]
	;; [unrolled: 1-line block ×4, first 2 shown]
	v_fma_f64 v[24:25], v[28:29], s[12:13], -v[124:125]
	v_fma_f64 v[26:27], v[30:31], s[12:13], v[126:127]
	v_fma_f64 v[124:125], v[28:29], s[12:13], v[124:125]
	v_fma_f64 v[126:127], v[30:31], s[12:13], -v[126:127]
	v_fma_f64 v[92:93], v[28:29], s[14:15], v[136:137]
	v_fma_f64 v[110:111], v[30:31], s[14:15], -v[138:139]
	v_add_f64 v[100:101], v[116:117], v[100:101]
	v_add_f64 v[72:73], v[72:73], v[104:105]
	;; [unrolled: 1-line block ×5, first 2 shown]
	v_fma_f64 v[208:209], v[68:69], s[12:13], -v[144:145]
	v_fma_f64 v[210:211], v[86:87], s[12:13], v[146:147]
	v_fma_f64 v[144:145], v[68:69], s[12:13], v[144:145]
	v_mul_f64 v[164:165], v[94:95], s[22:23]
	v_fma_f64 v[146:147], v[86:87], s[12:13], -v[146:147]
	v_mul_f64 v[168:169], v[94:95], s[20:21]
	v_mul_f64 v[94:95], v[94:95], s[18:19]
	v_add_f64 v[5:6], v[5:6], v[64:65]
	v_add_f64 v[10:11], v[10:11], v[66:67]
	v_fma_f64 v[64:65], v[28:29], s[14:15], -v[136:137]
	v_fma_f64 v[66:67], v[30:31], s[14:15], v[138:139]
	v_fma_f64 v[28:29], v[30:31], s[8:9], v[22:23]
	v_fma_f64 v[22:23], v[30:31], s[8:9], -v[22:23]
	v_add_f64 v[12:13], v[12:13], v[78:79]
	v_add_f64 v[30:31], v[112:113], v[96:97]
	v_add_f64 v[78:79], v[114:115], v[98:99]
	v_add_f64 v[96:97], v[188:189], v[172:173]
	v_add_f64 v[98:99], v[190:191], v[174:175]
	v_add_f64 v[112:113], v[192:193], v[176:177]
	v_add_f64 v[114:115], v[194:195], v[178:179]
	v_add_f64 v[82:83], v[82:83], v[184:185]
	v_add_f64 v[120:121], v[122:123], v[186:187]
	v_add_f64 v[1:2], v[16:17], v[1:2]
	v_add_f64 v[3:4], v[18:19], v[3:4]
	v_add_f64 v[16:17], v[80:81], v[48:49]
	v_add_f64 v[18:19], v[74:75], v[106:107]
	v_add_f64 v[48:49], v[118:119], v[102:103]
	v_add_f64 v[14:15], v[14:15], v[50:51]
	v_fma_f64 v[136:137], v[68:69], s[14:15], -v[140:141]
	v_fma_f64 v[140:141], v[68:69], s[14:15], v[140:141]
	v_fma_f64 v[50:51], v[68:69], s[2:3], -v[148:149]
	v_fma_f64 v[74:75], v[86:87], s[2:3], -v[150:151]
	;; [unrolled: 1-line block ×3, first 2 shown]
	v_fma_f64 v[102:103], v[86:87], s[16:17], v[154:155]
	v_fma_f64 v[106:107], v[68:69], s[16:17], v[152:153]
	v_fma_f64 v[118:119], v[86:87], s[16:17], -v[154:155]
	v_fma_f64 v[122:123], v[88:89], s[16:17], -v[156:157]
	;; [unrolled: 1-line block ×3, first 2 shown]
	v_fma_f64 v[138:139], v[86:87], s[14:15], v[142:143]
	v_fma_f64 v[142:143], v[86:87], s[14:15], -v[142:143]
	v_add_f64 v[20:21], v[20:21], v[72:73]
	v_add_f64 v[72:73], v[204:205], v[104:105]
	v_fma_f64 v[152:153], v[90:91], s[16:17], -v[158:159]
	v_fma_f64 v[104:105], v[90:91], s[14:15], v[166:167]
	v_add_f64 v[5:6], v[5:6], v[60:61]
	v_add_f64 v[10:11], v[10:11], v[62:63]
	v_fma_f64 v[60:61], v[86:87], s[2:3], v[150:151]
	v_fma_f64 v[62:63], v[68:69], s[2:3], v[148:149]
	;; [unrolled: 1-line block ×5, first 2 shown]
	v_fma_f64 v[70:71], v[86:87], s[8:9], -v[84:85]
	v_add_f64 v[12:13], v[24:25], v[12:13]
	v_add_f64 v[24:25], v[124:125], v[30:31]
	;; [unrolled: 1-line block ×18, first 2 shown]
	v_fma_f64 v[148:149], v[90:91], s[16:17], v[158:159]
	v_fma_f64 v[26:27], v[88:89], s[2:3], -v[160:161]
	v_fma_f64 v[48:49], v[90:91], s[2:3], v[162:163]
	v_fma_f64 v[82:83], v[90:91], s[2:3], -v[162:163]
	v_fma_f64 v[110:111], v[90:91], s[14:15], -v[166:167]
	v_fma_f64 v[114:115], v[90:91], s[12:13], v[170:171]
	v_fma_f64 v[120:121], v[90:91], s[12:13], -v[170:171]
	v_fma_f64 v[126:127], v[90:91], s[8:9], v[76:77]
	v_fma_f64 v[90:91], v[90:91], s[8:9], -v[76:77]
	v_fma_f64 v[124:125], v[88:89], s[8:9], -v[94:95]
	;; [unrolled: 1-line block ×3, first 2 shown]
	v_fma_f64 v[116:117], v[88:89], s[12:13], v[168:169]
	v_add_f64 v[5:6], v[5:6], v[56:57]
	v_add_f64 v[10:11], v[10:11], v[58:59]
	v_fma_f64 v[56:57], v[88:89], s[2:3], v[160:161]
	v_fma_f64 v[58:59], v[88:89], s[14:15], -v[164:165]
	v_add_f64 v[20:21], v[62:63], v[20:21]
	v_add_f64 v[62:63], v[80:81], v[72:73]
	v_fma_f64 v[108:109], v[88:89], s[14:15], v[164:165]
	v_fma_f64 v[88:89], v[88:89], s[8:9], v[94:95]
	v_add_f64 v[12:13], v[136:137], v[12:13]
	v_add_f64 v[24:25], v[140:141], v[24:25]
	v_add_f64 v[30:31], v[142:143], v[30:31]
	v_add_f64 v[76:77], v[208:209], v[78:79]
	v_add_f64 v[78:79], v[210:211], v[84:85]
	v_add_f64 v[84:85], v[144:145], v[86:87]
	v_add_f64 v[50:51], v[50:51], v[96:97]
	v_add_f64 v[28:29], v[60:61], v[28:29]
	v_add_f64 v[72:73], v[102:103], v[98:99]
	v_add_f64 v[86:87], v[154:155], v[64:65]
	v_add_f64 v[96:97], v[156:157], v[66:67]
	v_add_f64 v[98:99], v[68:69], v[1:2]
	v_add_f64 v[3:4], v[70:71], v[3:4]
	v_add_f64 v[80:81], v[106:107], v[100:101]
	v_add_f64 v[16:17], v[118:119], v[16:17]
	v_add_f64 v[18:19], v[74:75], v[18:19]
	v_add_f64 v[22:23], v[146:147], v[22:23]
	v_add_f64 v[14:15], v[138:139], v[14:15]
	s_load_b64 s[2:3], s[0:1], 0x38
	v_cmp_gt_u16_e64 s0, 0x6e, v0
	v_add_f64 v[5:6], v[5:6], v[52:53]
	v_add_f64 v[10:11], v[10:11], v[54:55]
	;; [unrolled: 1-line block ×22, first 2 shown]
                                        ; implicit-def: $vgpr120_vgpr121
	v_add_f64 v[44:45], v[5:6], v[44:45]
	v_add_f64 v[46:47], v[10:11], v[46:47]
	v_mul_lo_u16 v5, v0, 11
	s_delay_alu instid0(VALU_DEP_1) | instskip(NEXT) | instid1(VALU_DEP_1)
	v_and_b32_e32 v5, 0xffff, v5
	v_lshlrev_b32_e32 v224, 4, v5
	ds_store_b128 v224, v[52:55] offset:32
	ds_store_b128 v224, v[56:59] offset:48
	;; [unrolled: 1-line block ×9, first 2 shown]
	ds_store_b128 v224, v[44:47]
	ds_store_b128 v224, v[1:4] offset:16
	s_waitcnt lgkmcnt(0)
	s_barrier
	buffer_gl0_inv
	ds_load_b128 v[44:47], v255
	ds_load_b128 v[56:59], v255 offset:2640
	ds_load_b128 v[96:99], v255 offset:19360
	;; [unrolled: 1-line block ×8, first 2 shown]
	s_and_saveexec_b32 s1, s0
	s_cbranch_execz .LBB0_3
; %bb.2:
	ds_load_b128 v[48:51], v255 offset:7920
	ds_load_b128 v[92:95], v255 offset:17600
	;; [unrolled: 1-line block ×3, first 2 shown]
.LBB0_3:
	s_or_b32 exec_lo, exec_lo, s1
	v_and_b32_e32 v0, 0xff, v40
	v_add_co_u32 v10, null, 0xa5, v40
	v_add_nc_u16 v11, v40, 0x14a
	v_add_nc_u16 v3, v40, 0x1ef
	s_delay_alu instid0(VALU_DEP_4) | instskip(NEXT) | instid1(VALU_DEP_4)
	v_mul_lo_u16 v0, 0x75, v0
	v_and_b32_e32 v149, 0xffff, v10
	s_mov_b32 s8, 0xe8584caa
	v_and_b32_e32 v148, 0xffff, v11
	s_mov_b32 s9, 0x3febb67a
	v_lshrrev_b16 v0, 8, v0
	v_mul_u32_u24_e32 v2, 0xba2f, v149
	s_mov_b32 s13, 0xbfebb67a
	v_mul_u32_u24_e32 v4, 0xba2f, v148
	s_mov_b32 s12, s8
	v_sub_nc_u16 v1, v40, v0
	v_lshrrev_b32_e32 v32, 19, v2
	v_and_b32_e32 v2, 0xffff, v3
	v_lshrrev_b32_e32 v33, 19, v4
	s_delay_alu instid0(VALU_DEP_4) | instskip(NEXT) | instid1(VALU_DEP_4)
	v_lshrrev_b16 v1, 1, v1
	v_mul_lo_u16 v4, v32, 11
	s_delay_alu instid0(VALU_DEP_2) | instskip(NEXT) | instid1(VALU_DEP_2)
	v_and_b32_e32 v1, 0x7f, v1
	v_sub_nc_u16 v34, v10, v4
	s_delay_alu instid0(VALU_DEP_2) | instskip(SKIP_2) | instid1(VALU_DEP_3)
	v_add_nc_u16 v0, v1, v0
	v_mul_u32_u24_e32 v1, 0xba2f, v2
	v_mul_lo_u16 v2, v33, 11
	v_lshrrev_b16 v35, 3, v0
	s_delay_alu instid0(VALU_DEP_3) | instskip(NEXT) | instid1(VALU_DEP_3)
	v_lshrrev_b32_e32 v4, 19, v1
	v_sub_nc_u16 v36, v11, v2
	v_lshlrev_b16 v0, 1, v34
	s_delay_alu instid0(VALU_DEP_4) | instskip(NEXT) | instid1(VALU_DEP_4)
	v_mul_lo_u16 v1, v35, 11
	v_mul_lo_u16 v2, v4, 11
	s_delay_alu instid0(VALU_DEP_3) | instskip(NEXT) | instid1(VALU_DEP_3)
	v_and_b32_e32 v0, 0xffff, v0
	v_sub_nc_u16 v1, v40, v1
	s_delay_alu instid0(VALU_DEP_3)
	v_sub_nc_u16 v3, v3, v2
	scratch_store_b32 off, v4, off offset:236 ; 4-byte Folded Spill
	v_lshlrev_b16 v4, 1, v36
	v_lshlrev_b32_e32 v0, 4, v0
	v_and_b32_e32 v37, 0xff, v1
	scratch_store_b32 off, v3, off offset:240 ; 4-byte Folded Spill
	v_lshlrev_b16 v1, 1, v3
	v_and_b32_e32 v2, 0xffff, v4
	s_clause 0x1
	global_load_b128 v[60:63], v0, s[10:11]
	global_load_b128 v[72:75], v0, s[10:11] offset:16
	v_lshlrev_b32_e32 v3, 5, v37
	v_and_b32_e32 v0, 0xffff, v1
	v_lshlrev_b32_e32 v2, 4, v2
	s_clause 0x3
	global_load_b128 v[68:71], v2, s[10:11]
	global_load_b128 v[64:67], v2, s[10:11] offset:16
	global_load_b128 v[88:91], v3, s[10:11]
	global_load_b128 v[84:87], v3, s[10:11] offset:16
	v_lshlrev_b32_e32 v0, 4, v0
	s_clause 0x1
	global_load_b128 v[80:83], v0, s[10:11]
	global_load_b128 v[76:79], v0, s[10:11] offset:16
	s_waitcnt vmcnt(0) lgkmcnt(0)
	s_waitcnt_vscnt null, 0x0
	s_barrier
	buffer_gl0_inv
	v_mul_f64 v[0:1], v[118:119], v[62:63]
	v_mul_f64 v[2:3], v[116:117], v[62:63]
	;; [unrolled: 1-line block ×16, first 2 shown]
	v_fma_f64 v[116:117], v[116:117], v[60:61], -v[0:1]
	v_fma_f64 v[118:119], v[118:119], v[60:61], v[2:3]
	v_fma_f64 v[112:113], v[112:113], v[72:73], -v[4:5]
	v_fma_f64 v[114:115], v[114:115], v[72:73], v[6:7]
	v_fma_f64 v[12:13], v[104:105], v[68:69], -v[12:13]
	v_fma_f64 v[14:15], v[108:109], v[64:65], -v[14:15]
	;; [unrolled: 1-line block ×4, first 2 shown]
	v_fma_f64 v[20:21], v[102:103], v[88:89], v[20:21]
	v_fma_f64 v[22:23], v[98:99], v[84:85], v[22:23]
	;; [unrolled: 1-line block ×4, first 2 shown]
	v_fma_f64 v[2:3], v[92:93], v[80:81], -v[28:29]
	v_fma_f64 v[0:1], v[120:121], v[76:77], -v[30:31]
	v_fma_f64 v[6:7], v[94:95], v[80:81], v[124:125]
	v_fma_f64 v[4:5], v[122:123], v[76:77], v[126:127]
	v_add_f64 v[104:105], v[56:57], v[116:117]
	v_add_f64 v[108:109], v[58:59], v[118:119]
	;; [unrolled: 1-line block ×4, first 2 shown]
	v_add_f64 v[106:107], v[118:119], -v[114:115]
	v_add_f64 v[110:111], v[116:117], -v[112:113]
	v_add_f64 v[116:117], v[52:53], v[12:13]
	v_add_f64 v[92:93], v[12:13], v[14:15]
	v_add_f64 v[120:121], v[44:45], v[16:17]
	v_add_f64 v[94:95], v[16:17], v[18:19]
	v_add_f64 v[122:123], v[46:47], v[20:21]
	v_add_f64 v[96:97], v[20:21], v[22:23]
	v_add_f64 v[118:119], v[54:55], v[24:25]
	v_add_f64 v[98:99], v[24:25], v[26:27]
	v_add_f64 v[24:25], v[24:25], -v[26:27]
	v_add_f64 v[100:101], v[2:3], v[0:1]
	v_add_f64 v[20:21], v[20:21], -v[22:23]
	v_add_f64 v[102:103], v[6:7], v[4:5]
	v_add_f64 v[16:17], v[16:17], -v[18:19]
	v_add_f64 v[12:13], v[12:13], -v[14:15]
	v_add_f64 v[132:133], v[6:7], -v[4:5]
	v_add_f64 v[138:139], v[2:3], -v[0:1]
	v_fma_f64 v[28:29], v[28:29], -0.5, v[56:57]
	v_fma_f64 v[30:31], v[30:31], -0.5, v[58:59]
	;; [unrolled: 1-line block ×3, first 2 shown]
	v_add_f64 v[56:57], v[120:121], v[18:19]
	v_fma_f64 v[126:127], v[94:95], -0.5, v[44:45]
	v_add_f64 v[44:45], v[104:105], v[112:113]
	v_fma_f64 v[128:129], v[96:97], -0.5, v[46:47]
	;; [unrolled: 2-line block ×5, first 2 shown]
	v_add_f64 v[54:55], v[118:119], v[26:27]
	v_mad_u16 v14, v33, 33, v36
	s_delay_alu instid0(VALU_DEP_1)
	v_and_b32_e32 v14, 0xffff, v14
	v_fma_f64 v[96:97], v[106:107], s[12:13], v[28:29]
	v_fma_f64 v[94:95], v[110:111], s[12:13], v[30:31]
	;; [unrolled: 1-line block ×16, first 2 shown]
	v_mad_u16 v12, v32, 33, v34
	v_and_b32_e32 v13, 0xffff, v35
	s_delay_alu instid0(VALU_DEP_2) | instskip(NEXT) | instid1(VALU_DEP_2)
	v_and_b32_e32 v12, 0xffff, v12
	v_mul_u32_u24_e32 v13, 33, v13
	s_delay_alu instid0(VALU_DEP_2) | instskip(NEXT) | instid1(VALU_DEP_2)
	v_lshlrev_b32_e32 v15, 4, v12
	v_add_lshl_u32 v13, v13, v37, 4
	v_lshlrev_b32_e32 v12, 4, v14
	ds_store_b128 v13, v[56:59]
	ds_store_b128 v13, v[104:107] offset:176
	scratch_store_b32 off, v13, off offset:252 ; 4-byte Folded Spill
	ds_store_b128 v13, v[108:111] offset:352
	ds_store_b128 v15, v[44:47]
	ds_store_b128 v15, v[92:95] offset:176
	scratch_store_b32 off, v15, off offset:248 ; 4-byte Folded Spill
	ds_store_b128 v15, v[96:99] offset:352
	;; [unrolled: 4-line block ×3, first 2 shown]
	s_and_saveexec_b32 s1, s0
	s_cbranch_execz .LBB0_5
; %bb.4:
	v_add_f64 v[6:7], v[50:51], v[6:7]
	v_add_f64 v[12:13], v[48:49], v[2:3]
	s_delay_alu instid0(VALU_DEP_2)
	v_add_f64 v[2:3], v[6:7], v[4:5]
	s_clause 0x1
	scratch_load_b32 v4, off, off offset:236
	scratch_load_b32 v5, off, off offset:240
	v_add_f64 v[0:1], v[12:13], v[0:1]
	s_waitcnt vmcnt(0)
	v_mad_u16 v4, v4, 33, v5
	s_delay_alu instid0(VALU_DEP_1) | instskip(NEXT) | instid1(VALU_DEP_1)
	v_and_b32_e32 v4, 0xffff, v4
	v_lshlrev_b32_e32 v4, 4, v4
	ds_store_b128 v4, v[0:3]
	ds_store_b128 v4, v[124:127] offset:176
	ds_store_b128 v4, v[136:139] offset:352
.LBB0_5:
	s_or_b32 exec_lo, exec_lo, s1
	s_waitcnt lgkmcnt(0)
	s_waitcnt_vscnt null, 0x0
	s_barrier
	buffer_gl0_inv
	ds_load_b128 v[132:135], v255
	ds_load_b128 v[128:131], v255 offset:2640
	ds_load_b128 v[108:111], v255 offset:5808
	;; [unrolled: 1-line block ×9, first 2 shown]
	v_cmp_gt_u16_e32 vcc_lo, 33, v40
                                        ; implicit-def: $vgpr52_vgpr53
                                        ; implicit-def: $vgpr140_vgpr141
                                        ; implicit-def: $vgpr144_vgpr145
	s_and_saveexec_b32 s1, vcc_lo
	s_cbranch_execz .LBB0_7
; %bb.6:
	ds_load_b128 v[124:127], v255 offset:5280
	ds_load_b128 v[136:139], v255 offset:11088
	ds_load_b128 v[52:55], v255 offset:16896
	ds_load_b128 v[140:143], v255 offset:22704
	ds_load_b128 v[144:147], v255 offset:28512
.LBB0_7:
	s_or_b32 exec_lo, exec_lo, s1
	v_and_b32_e32 v0, 0xff, v40
	s_mov_b32 s14, 0x134454ff
	s_mov_b32 s15, 0x3fee6f0e
	;; [unrolled: 1-line block ×4, first 2 shown]
	v_mul_lo_u16 v0, 0xf9, v0
	s_mov_b32 s8, 0x4755a5e
	s_mov_b32 s9, 0x3fe2cf23
	;; [unrolled: 1-line block ×4, first 2 shown]
	v_lshrrev_b16 v1, 13, v0
	s_mov_b32 s18, 0x372fe950
	s_mov_b32 s19, 0x3fd3c6ef
	s_delay_alu instid0(VALU_DEP_1) | instskip(SKIP_1) | instid1(VALU_DEP_2)
	v_mul_lo_u16 v0, v1, 33
	v_and_b32_e32 v1, 0xffff, v1
	v_sub_nc_u16 v0, v40, v0
	s_delay_alu instid0(VALU_DEP_2) | instskip(NEXT) | instid1(VALU_DEP_2)
	v_mul_u32_u24_e32 v1, 0xa5, v1
	v_and_b32_e32 v0, 0xff, v0
	s_delay_alu instid0(VALU_DEP_1) | instskip(NEXT) | instid1(VALU_DEP_3)
	v_lshlrev_b32_e32 v4, 6, v0
	v_add_lshl_u32 v0, v1, v0, 4
	s_clause 0x1
	global_load_b128 v[92:95], v4, s[10:11] offset:368
	global_load_b128 v[96:99], v4, s[10:11] offset:352
	s_waitcnt vmcnt(1) lgkmcnt(5)
	v_mul_f64 v[2:3], v[102:103], v[94:95]
	s_delay_alu instid0(VALU_DEP_1) | instskip(SKIP_1) | instid1(VALU_DEP_1)
	v_fma_f64 v[5:6], v[100:101], v[92:93], -v[2:3]
	v_mul_f64 v[2:3], v[100:101], v[94:95]
	v_fma_f64 v[12:13], v[102:103], v[92:93], v[2:3]
	s_clause 0x1
	global_load_b128 v[100:103], v4, s[10:11] offset:384
	global_load_b128 v[104:107], v4, s[10:11] offset:400
	s_waitcnt vmcnt(1) lgkmcnt(3)
	v_mul_f64 v[2:3], v[122:123], v[102:103]
	s_delay_alu instid0(VALU_DEP_1) | instskip(SKIP_1) | instid1(VALU_DEP_2)
	v_fma_f64 v[14:15], v[120:121], v[100:101], -v[2:3]
	v_mul_f64 v[2:3], v[120:121], v[102:103]
	v_add_f64 v[180:181], v[5:6], -v[14:15]
	s_delay_alu instid0(VALU_DEP_2) | instskip(SKIP_1) | instid1(VALU_DEP_2)
	v_fma_f64 v[16:17], v[122:123], v[100:101], v[2:3]
	v_mul_f64 v[2:3], v[110:111], v[98:99]
	v_add_f64 v[172:173], v[12:13], -v[16:17]
	s_delay_alu instid0(VALU_DEP_2) | instskip(SKIP_1) | instid1(VALU_DEP_1)
	v_fma_f64 v[18:19], v[108:109], v[96:97], -v[2:3]
	v_mul_f64 v[2:3], v[108:109], v[98:99]
	v_fma_f64 v[20:21], v[110:111], v[96:97], v[2:3]
	s_waitcnt vmcnt(0) lgkmcnt(1)
	v_mul_f64 v[2:3], v[114:115], v[106:107]
	s_delay_alu instid0(VALU_DEP_1) | instskip(SKIP_1) | instid1(VALU_DEP_2)
	v_fma_f64 v[22:23], v[112:113], v[104:105], -v[2:3]
	v_mul_f64 v[2:3], v[112:113], v[106:107]
	v_add_f64 v[174:175], v[18:19], -v[22:23]
	s_delay_alu instid0(VALU_DEP_2) | instskip(SKIP_1) | instid1(VALU_DEP_1)
	v_fma_f64 v[24:25], v[114:115], v[104:105], v[2:3]
	v_mul_u32_u24_e32 v2, 0xf83f, v149
	v_lshrrev_b32_e32 v2, 21, v2
	s_delay_alu instid0(VALU_DEP_1) | instskip(NEXT) | instid1(VALU_DEP_1)
	v_mul_lo_u16 v3, v2, 33
	v_sub_nc_u16 v3, v10, v3
	s_delay_alu instid0(VALU_DEP_1) | instskip(NEXT) | instid1(VALU_DEP_1)
	v_lshlrev_b16 v4, 6, v3
	v_and_b32_e32 v4, 0xffff, v4
	s_delay_alu instid0(VALU_DEP_1) | instskip(NEXT) | instid1(VALU_DEP_1)
	v_add_co_u32 v26, s1, s10, v4
	v_add_co_ci_u32_e64 v27, null, s11, 0, s1
	s_clause 0x1
	global_load_b128 v[108:111], v[26:27], off offset:368
	global_load_b128 v[112:115], v[26:27], off offset:352
	v_mul_u32_u24_e32 v4, 0xf83f, v148
	s_delay_alu instid0(VALU_DEP_1) | instskip(NEXT) | instid1(VALU_DEP_1)
	v_lshrrev_b32_e32 v4, 21, v4
	v_mul_lo_u16 v4, v4, 33
	s_delay_alu instid0(VALU_DEP_1) | instskip(NEXT) | instid1(VALU_DEP_1)
	v_sub_nc_u16 v4, v11, v4
	v_lshlrev_b16 v7, 6, v4
	s_delay_alu instid0(VALU_DEP_1) | instskip(NEXT) | instid1(VALU_DEP_1)
	v_and_b32_e32 v7, 0xffff, v7
	v_add_co_u32 v10, s1, s10, v7
	s_delay_alu instid0(VALU_DEP_1) | instskip(SKIP_3) | instid1(VALU_DEP_2)
	v_add_co_ci_u32_e64 v11, null, s11, 0, s1
	s_waitcnt vmcnt(1)
	v_mul_f64 v[28:29], v[118:119], v[110:111]
	v_mul_f64 v[30:31], v[116:117], v[110:111]
	v_fma_f64 v[28:29], v[116:117], v[108:109], -v[28:29]
	s_delay_alu instid0(VALU_DEP_2)
	v_fma_f64 v[30:31], v[118:119], v[108:109], v[30:31]
	s_clause 0x1
	global_load_b128 v[116:119], v[26:27], off offset:384
	global_load_b128 v[120:123], v[26:27], off offset:400
	s_waitcnt vmcnt(1)
	v_mul_f64 v[26:27], v[58:59], v[118:119]
	s_delay_alu instid0(VALU_DEP_1) | instskip(SKIP_1) | instid1(VALU_DEP_1)
	v_fma_f64 v[26:27], v[56:57], v[116:117], -v[26:27]
	v_mul_f64 v[56:57], v[56:57], v[118:119]
	v_fma_f64 v[149:150], v[58:59], v[116:117], v[56:57]
	v_mul_f64 v[56:57], v[46:47], v[114:115]
	s_delay_alu instid0(VALU_DEP_1) | instskip(SKIP_1) | instid1(VALU_DEP_1)
	v_fma_f64 v[176:177], v[44:45], v[112:113], -v[56:57]
	v_mul_f64 v[44:45], v[44:45], v[114:115]
	v_fma_f64 v[178:179], v[46:47], v[112:113], v[44:45]
	s_waitcnt vmcnt(0) lgkmcnt(0)
	v_mul_f64 v[44:45], v[50:51], v[122:123]
	s_delay_alu instid0(VALU_DEP_1) | instskip(SKIP_1) | instid1(VALU_DEP_1)
	v_fma_f64 v[192:193], v[48:49], v[120:121], -v[44:45]
	v_mul_f64 v[44:45], v[48:49], v[122:123]
	v_fma_f64 v[194:195], v[50:51], v[120:121], v[44:45]
	s_clause 0x1
	global_load_b128 v[44:47], v[10:11], off offset:368
	global_load_b128 v[48:51], v[10:11], off offset:352
	s_waitcnt vmcnt(1)
	v_mul_f64 v[56:57], v[54:55], v[46:47]
	s_delay_alu instid0(VALU_DEP_1) | instskip(SKIP_1) | instid1(VALU_DEP_1)
	v_fma_f64 v[152:153], v[52:53], v[44:45], -v[56:57]
	v_mul_f64 v[52:53], v[52:53], v[46:47]
	v_fma_f64 v[154:155], v[54:55], v[44:45], v[52:53]
	s_clause 0x1
	global_load_b128 v[52:55], v[10:11], off offset:384
	global_load_b128 v[56:59], v[10:11], off offset:400
	s_waitcnt vmcnt(1)
	v_mul_f64 v[10:11], v[142:143], v[54:55]
	s_delay_alu instid0(VALU_DEP_1) | instskip(SKIP_2) | instid1(VALU_DEP_2)
	v_fma_f64 v[156:157], v[140:141], v[52:53], -v[10:11]
	v_mul_f64 v[10:11], v[140:141], v[54:55]
	v_add_f64 v[140:141], v[22:23], -v[14:15]
	v_fma_f64 v[158:159], v[142:143], v[52:53], v[10:11]
	v_mul_f64 v[10:11], v[138:139], v[50:51]
	v_add_f64 v[142:143], v[24:25], -v[16:17]
	s_delay_alu instid0(VALU_DEP_2) | instskip(SKIP_1) | instid1(VALU_DEP_1)
	v_fma_f64 v[160:161], v[136:137], v[48:49], -v[10:11]
	v_mul_f64 v[10:11], v[136:137], v[50:51]
	v_fma_f64 v[162:163], v[138:139], v[48:49], v[10:11]
	s_waitcnt vmcnt(0)
	v_mul_f64 v[10:11], v[146:147], v[58:59]
	s_delay_alu instid0(VALU_DEP_1) | instskip(SKIP_2) | instid1(VALU_DEP_2)
	v_fma_f64 v[136:137], v[144:145], v[56:57], -v[10:11]
	v_mul_f64 v[10:11], v[144:145], v[58:59]
	v_add_f64 v[144:145], v[12:13], v[16:17]
	v_fma_f64 v[138:139], v[146:147], v[56:57], v[10:11]
	v_add_f64 v[10:11], v[18:19], -v[5:6]
	s_delay_alu instid0(VALU_DEP_3) | instskip(SKIP_1) | instid1(VALU_DEP_3)
	v_fma_f64 v[144:145], v[144:145], -0.5, v[134:135]
	v_add_f64 v[146:147], v[20:21], -v[24:25]
	v_add_f64 v[10:11], v[10:11], v[140:141]
	v_add_f64 v[140:141], v[20:21], -v[12:13]
	s_delay_alu instid0(VALU_DEP_4) | instskip(SKIP_1) | instid1(VALU_DEP_3)
	v_fma_f64 v[166:167], v[174:175], s[16:17], v[144:145]
	v_fma_f64 v[144:145], v[174:175], s[14:15], v[144:145]
	v_add_f64 v[140:141], v[140:141], v[142:143]
	v_add_f64 v[142:143], v[5:6], v[14:15]
	s_delay_alu instid0(VALU_DEP_4) | instskip(NEXT) | instid1(VALU_DEP_4)
	v_fma_f64 v[166:167], v[180:181], s[12:13], v[166:167]
	v_fma_f64 v[144:145], v[180:181], s[8:9], v[144:145]
	s_delay_alu instid0(VALU_DEP_3) | instskip(NEXT) | instid1(VALU_DEP_3)
	v_fma_f64 v[142:143], v[142:143], -0.5, v[132:133]
	v_fma_f64 v[166:167], v[140:141], s[18:19], v[166:167]
	s_delay_alu instid0(VALU_DEP_3) | instskip(SKIP_1) | instid1(VALU_DEP_4)
	v_fma_f64 v[170:171], v[140:141], s[18:19], v[144:145]
	v_add_f64 v[140:141], v[20:21], v[24:25]
	v_fma_f64 v[164:165], v[146:147], s[14:15], v[142:143]
	v_fma_f64 v[142:143], v[146:147], s[16:17], v[142:143]
	s_delay_alu instid0(VALU_DEP_3) | instskip(SKIP_1) | instid1(VALU_DEP_4)
	v_fma_f64 v[140:141], v[140:141], -0.5, v[134:135]
	v_add_f64 v[134:135], v[134:135], v[20:21]
	v_fma_f64 v[164:165], v[172:173], s[8:9], v[164:165]
	s_delay_alu instid0(VALU_DEP_4) | instskip(NEXT) | instid1(VALU_DEP_2)
	v_fma_f64 v[142:143], v[172:173], s[12:13], v[142:143]
	v_fma_f64 v[164:165], v[10:11], s[18:19], v[164:165]
	s_delay_alu instid0(VALU_DEP_2) | instskip(SKIP_1) | instid1(VALU_DEP_1)
	v_fma_f64 v[168:169], v[10:11], s[18:19], v[142:143]
	v_add_f64 v[10:11], v[18:19], v[22:23]
	v_fma_f64 v[10:11], v[10:11], -0.5, v[132:133]
	v_add_f64 v[132:133], v[132:133], v[18:19]
	v_add_f64 v[18:19], v[5:6], -v[18:19]
	s_delay_alu instid0(VALU_DEP_2) | instskip(SKIP_2) | instid1(VALU_DEP_3)
	v_add_f64 v[5:6], v[132:133], v[5:6]
	v_add_f64 v[132:133], v[134:135], v[12:13]
	v_add_f64 v[12:13], v[12:13], -v[20:21]
	v_add_f64 v[5:6], v[5:6], v[14:15]
	s_delay_alu instid0(VALU_DEP_3) | instskip(SKIP_1) | instid1(VALU_DEP_3)
	v_add_f64 v[20:21], v[132:133], v[16:17]
	v_add_f64 v[14:15], v[14:15], -v[22:23]
	v_add_f64 v[132:133], v[5:6], v[22:23]
	s_delay_alu instid0(VALU_DEP_3)
	v_add_f64 v[134:135], v[20:21], v[24:25]
	v_add_f64 v[5:6], v[16:17], -v[24:25]
	v_fma_f64 v[16:17], v[172:173], s[16:17], v[10:11]
	v_fma_f64 v[10:11], v[172:173], s[14:15], v[10:11]
	;; [unrolled: 1-line block ×4, first 2 shown]
	v_add_f64 v[14:15], v[18:19], v[14:15]
	v_add_f64 v[24:25], v[28:29], -v[26:27]
	v_add_f64 v[5:6], v[12:13], v[5:6]
	v_fma_f64 v[12:13], v[146:147], s[8:9], v[16:17]
	v_fma_f64 v[10:11], v[146:147], s[12:13], v[10:11]
	;; [unrolled: 1-line block ×4, first 2 shown]
	v_add_f64 v[22:23], v[176:177], -v[192:193]
	v_fma_f64 v[172:173], v[14:15], s[18:19], v[12:13]
	v_fma_f64 v[180:181], v[14:15], s[18:19], v[10:11]
	;; [unrolled: 1-line block ×4, first 2 shown]
	v_add_f64 v[5:6], v[176:177], -v[28:29]
	v_add_f64 v[10:11], v[192:193], -v[26:27]
	;; [unrolled: 1-line block ×3, first 2 shown]
	v_add_f64 v[14:15], v[30:31], v[149:150]
	v_add_f64 v[16:17], v[178:179], -v[194:195]
	v_add_f64 v[18:19], v[30:31], -v[149:150]
	v_add_f64 v[5:6], v[5:6], v[10:11]
	v_add_f64 v[10:11], v[178:179], -v[30:31]
	v_fma_f64 v[14:15], v[14:15], -0.5, v[130:131]
	s_delay_alu instid0(VALU_DEP_2) | instskip(SKIP_1) | instid1(VALU_DEP_3)
	v_add_f64 v[10:11], v[10:11], v[12:13]
	v_add_f64 v[12:13], v[28:29], v[26:27]
	v_fma_f64 v[140:141], v[22:23], s[16:17], v[14:15]
	v_fma_f64 v[14:15], v[22:23], s[14:15], v[14:15]
	s_delay_alu instid0(VALU_DEP_3) | instskip(NEXT) | instid1(VALU_DEP_3)
	v_fma_f64 v[12:13], v[12:13], -0.5, v[128:129]
	v_fma_f64 v[140:141], v[24:25], s[12:13], v[140:141]
	s_delay_alu instid0(VALU_DEP_3) | instskip(NEXT) | instid1(VALU_DEP_3)
	v_fma_f64 v[14:15], v[24:25], s[8:9], v[14:15]
	v_fma_f64 v[20:21], v[16:17], s[14:15], v[12:13]
	;; [unrolled: 1-line block ×3, first 2 shown]
	s_delay_alu instid0(VALU_DEP_3)
	v_fma_f64 v[190:191], v[10:11], s[18:19], v[14:15]
	v_add_f64 v[14:15], v[130:131], v[178:179]
	v_fma_f64 v[186:187], v[10:11], s[18:19], v[140:141]
	v_add_f64 v[10:11], v[178:179], v[194:195]
	v_fma_f64 v[20:21], v[18:19], s[8:9], v[20:21]
	v_fma_f64 v[12:13], v[18:19], s[12:13], v[12:13]
	v_add_f64 v[14:15], v[14:15], v[30:31]
	s_delay_alu instid0(VALU_DEP_4) | instskip(NEXT) | instid1(VALU_DEP_4)
	v_fma_f64 v[10:11], v[10:11], -0.5, v[130:131]
	v_fma_f64 v[184:185], v[5:6], s[18:19], v[20:21]
	s_delay_alu instid0(VALU_DEP_4) | instskip(SKIP_4) | instid1(VALU_DEP_4)
	v_fma_f64 v[188:189], v[5:6], s[18:19], v[12:13]
	v_add_f64 v[12:13], v[128:129], v[176:177]
	v_add_f64 v[5:6], v[176:177], v[192:193]
	;; [unrolled: 1-line block ×3, first 2 shown]
	v_add_f64 v[20:21], v[28:29], -v[176:177]
	v_add_f64 v[12:13], v[12:13], v[28:29]
	s_delay_alu instid0(VALU_DEP_4) | instskip(SKIP_2) | instid1(VALU_DEP_4)
	v_fma_f64 v[5:6], v[5:6], -0.5, v[128:129]
	v_add_f64 v[28:29], v[30:31], -v[178:179]
	v_add_f64 v[130:131], v[14:15], v[194:195]
	v_add_f64 v[12:13], v[12:13], v[26:27]
	v_add_f64 v[26:27], v[26:27], -v[192:193]
	v_fma_f64 v[14:15], v[18:19], s[16:17], v[5:6]
	v_fma_f64 v[5:6], v[18:19], s[14:15], v[5:6]
	;; [unrolled: 1-line block ×4, first 2 shown]
	v_add_f64 v[24:25], v[152:153], -v[156:157]
	v_add_f64 v[128:129], v[12:13], v[192:193]
	v_add_f64 v[12:13], v[149:150], -v[194:195]
	v_add_f64 v[20:21], v[20:21], v[26:27]
	v_fma_f64 v[5:6], v[16:17], s[12:13], v[5:6]
	v_fma_f64 v[14:15], v[16:17], s[8:9], v[14:15]
	;; [unrolled: 1-line block ×4, first 2 shown]
	v_add_f64 v[22:23], v[160:161], -v[136:137]
	v_add_f64 v[18:19], v[154:155], -v[158:159]
	v_add_f64 v[12:13], v[28:29], v[12:13]
	v_fma_f64 v[196:197], v[20:21], s[18:19], v[5:6]
	v_add_f64 v[5:6], v[160:161], -v[152:153]
	v_fma_f64 v[192:193], v[20:21], s[18:19], v[14:15]
	v_add_f64 v[14:15], v[154:155], v[158:159]
	v_fma_f64 v[198:199], v[12:13], s[18:19], v[10:11]
	v_add_f64 v[10:11], v[136:137], -v[156:157]
	v_fma_f64 v[194:195], v[12:13], s[18:19], v[16:17]
	v_add_f64 v[12:13], v[138:139], -v[158:159]
	v_add_f64 v[16:17], v[162:163], -v[138:139]
	v_fma_f64 v[14:15], v[14:15], -0.5, v[126:127]
	v_add_f64 v[5:6], v[5:6], v[10:11]
	v_add_f64 v[10:11], v[162:163], -v[154:155]
	s_delay_alu instid0(VALU_DEP_3) | instskip(SKIP_1) | instid1(VALU_DEP_3)
	v_fma_f64 v[26:27], v[22:23], s[16:17], v[14:15]
	v_fma_f64 v[14:15], v[22:23], s[14:15], v[14:15]
	v_add_f64 v[10:11], v[10:11], v[12:13]
	v_add_f64 v[12:13], v[152:153], v[156:157]
	s_delay_alu instid0(VALU_DEP_4) | instskip(NEXT) | instid1(VALU_DEP_4)
	v_fma_f64 v[26:27], v[24:25], s[12:13], v[26:27]
	v_fma_f64 v[14:15], v[24:25], s[8:9], v[14:15]
	s_delay_alu instid0(VALU_DEP_3) | instskip(NEXT) | instid1(VALU_DEP_3)
	v_fma_f64 v[12:13], v[12:13], -0.5, v[124:125]
	v_fma_f64 v[178:179], v[10:11], s[18:19], v[26:27]
	s_delay_alu instid0(VALU_DEP_3) | instskip(SKIP_1) | instid1(VALU_DEP_4)
	v_fma_f64 v[14:15], v[10:11], s[18:19], v[14:15]
	v_add_f64 v[10:11], v[156:157], -v[136:137]
	v_fma_f64 v[20:21], v[16:17], s[14:15], v[12:13]
	v_fma_f64 v[12:13], v[16:17], s[16:17], v[12:13]
	s_delay_alu instid0(VALU_DEP_2) | instskip(NEXT) | instid1(VALU_DEP_2)
	v_fma_f64 v[20:21], v[18:19], s[8:9], v[20:21]
	v_fma_f64 v[12:13], v[18:19], s[12:13], v[12:13]
	s_delay_alu instid0(VALU_DEP_2) | instskip(NEXT) | instid1(VALU_DEP_2)
	v_fma_f64 v[176:177], v[5:6], s[18:19], v[20:21]
	v_fma_f64 v[12:13], v[5:6], s[18:19], v[12:13]
	v_add_f64 v[5:6], v[152:153], -v[160:161]
	v_add_f64 v[20:21], v[154:155], -v[162:163]
	scratch_store_b128 off, v[12:15], off   ; 16-byte Folded Spill
	v_add_f64 v[5:6], v[5:6], v[10:11]
	v_add_f64 v[10:11], v[160:161], v[136:137]
	;; [unrolled: 1-line block ×3, first 2 shown]
	s_delay_alu instid0(VALU_DEP_2) | instskip(NEXT) | instid1(VALU_DEP_2)
	v_fma_f64 v[10:11], v[10:11], -0.5, v[124:125]
	v_fma_f64 v[14:15], v[14:15], -0.5, v[126:127]
	s_delay_alu instid0(VALU_DEP_2) | instskip(SKIP_1) | instid1(VALU_DEP_3)
	v_fma_f64 v[12:13], v[18:19], s[16:17], v[10:11]
	v_fma_f64 v[10:11], v[18:19], s[14:15], v[10:11]
	;; [unrolled: 1-line block ×4, first 2 shown]
	v_add_f64 v[24:25], v[158:159], -v[138:139]
	v_fma_f64 v[12:13], v[16:17], s[8:9], v[12:13]
	v_fma_f64 v[10:11], v[16:17], s[12:13], v[10:11]
	;; [unrolled: 1-line block ×4, first 2 shown]
	v_add_f64 v[20:21], v[20:21], v[24:25]
	v_fma_f64 v[22:23], v[5:6], s[18:19], v[12:13]
	v_fma_f64 v[10:11], v[5:6], s[18:19], v[10:11]
	s_delay_alu instid0(VALU_DEP_3)
	v_fma_f64 v[24:25], v[20:21], s[18:19], v[16:17]
	v_fma_f64 v[12:13], v[20:21], s[18:19], v[14:15]
	s_clause 0x1
	scratch_store_b128 off, v[22:25], off offset:16
	scratch_store_b128 off, v[10:13], off offset:32
	s_waitcnt_vscnt null, 0x0
	s_barrier
	buffer_gl0_inv
	ds_store_b128 v0, v[132:135]
	ds_store_b128 v0, v[164:167] offset:528
	ds_store_b128 v0, v[172:175] offset:1056
	;; [unrolled: 1-line block ×3, first 2 shown]
	scratch_store_b32 off, v0, off offset:264 ; 4-byte Folded Spill
	ds_store_b128 v0, v[168:171] offset:2112
	v_mad_u16 v0, 0xa5, v2, v3
	s_delay_alu instid0(VALU_DEP_1) | instskip(NEXT) | instid1(VALU_DEP_1)
	v_and_b32_e32 v0, 0xffff, v0
	v_lshlrev_b32_e32 v0, 4, v0
	ds_store_b128 v0, v[128:131]
	ds_store_b128 v0, v[184:187] offset:528
	ds_store_b128 v0, v[192:195] offset:1056
	;; [unrolled: 1-line block ×3, first 2 shown]
	scratch_store_b32 off, v0, off offset:260 ; 4-byte Folded Spill
	ds_store_b128 v0, v[188:191] offset:2112
	v_and_b32_e32 v0, 0xffff, v4
	scratch_store_b32 off, v0, off offset:256 ; 4-byte Folded Spill
	s_and_saveexec_b32 s1, vcc_lo
	s_cbranch_execz .LBB0_9
; %bb.8:
	v_add_f64 v[0:1], v[126:127], v[162:163]
	v_add_f64 v[2:3], v[124:125], v[160:161]
	scratch_load_b128 v[10:13], off, off offset:16 ; 16-byte Folded Reload
	v_add_f64 v[0:1], v[0:1], v[154:155]
	v_add_f64 v[2:3], v[2:3], v[152:153]
	s_delay_alu instid0(VALU_DEP_2) | instskip(NEXT) | instid1(VALU_DEP_2)
	v_add_f64 v[0:1], v[0:1], v[158:159]
	v_add_f64 v[4:5], v[2:3], v[156:157]
	s_delay_alu instid0(VALU_DEP_2) | instskip(NEXT) | instid1(VALU_DEP_2)
	v_add_f64 v[2:3], v[0:1], v[138:139]
	v_add_f64 v[0:1], v[4:5], v[136:137]
	scratch_load_b32 v4, off, off offset:256 ; 4-byte Folded Reload
	s_waitcnt vmcnt(0)
	v_lshlrev_b32_e32 v4, 4, v4
	ds_store_b128 v4, v[10:13] offset:27456
	scratch_load_b128 v[10:13], off, off offset:32 ; 16-byte Folded Reload
	s_waitcnt vmcnt(0)
	ds_store_b128 v4, v[10:13] offset:27984
	ds_store_b128 v4, v[0:3] offset:26400
	ds_store_b128 v4, v[176:179] offset:26928
	scratch_load_b128 v[0:3], off, off      ; 16-byte Folded Reload
	s_waitcnt vmcnt(0)
	ds_store_b128 v4, v[0:3] offset:28512
.LBB0_9:
	s_or_b32 exec_lo, exec_lo, s1
	v_mad_u64_u32 v[0:1], null, 0xa0, v40, s[10:11]
	scratch_store_b32 off, v40, off offset:80 ; 4-byte Folded Spill
	s_waitcnt lgkmcnt(0)
	s_waitcnt_vscnt null, 0x0
	s_barrier
	buffer_gl0_inv
	s_mov_b32 s26, 0xf8bb580b
	s_mov_b32 s14, 0x8eee2c13
	s_clause 0x3
	global_load_b128 v[136:139], v[0:1], off offset:2464
	global_load_b128 v[132:135], v[0:1], off offset:2480
	;; [unrolled: 1-line block ×4, first 2 shown]
	ds_load_b128 v[2:5], v255 offset:2640
	ds_load_b128 v[220:223], v255
	ds_load_b128 v[152:155], v255 offset:5280
	ds_load_b128 v[156:159], v255 offset:7920
	s_mov_b32 s16, 0x43842ef
	s_mov_b32 s10, 0xbb3a28a1
	;; [unrolled: 1-line block ×28, first 2 shown]
	s_waitcnt vmcnt(3) lgkmcnt(3)
	v_mul_f64 v[6:7], v[4:5], v[138:139]
	v_mul_f64 v[12:13], v[2:3], v[138:139]
	s_delay_alu instid0(VALU_DEP_2) | instskip(NEXT) | instid1(VALU_DEP_2)
	v_fma_f64 v[6:7], v[2:3], v[136:137], -v[6:7]
	v_fma_f64 v[12:13], v[4:5], v[136:137], v[12:13]
	s_waitcnt vmcnt(2) lgkmcnt(1)
	v_mul_f64 v[2:3], v[154:155], v[134:135]
	v_mul_f64 v[4:5], v[152:153], v[134:135]
	s_delay_alu instid0(VALU_DEP_2) | instskip(NEXT) | instid1(VALU_DEP_2)
	v_fma_f64 v[180:181], v[152:153], v[132:133], -v[2:3]
	v_fma_f64 v[182:183], v[154:155], v[132:133], v[4:5]
	s_waitcnt vmcnt(1) lgkmcnt(0)
	v_mul_f64 v[2:3], v[158:159], v[126:127]
	v_mul_f64 v[4:5], v[156:157], v[126:127]
	s_delay_alu instid0(VALU_DEP_2) | instskip(NEXT) | instid1(VALU_DEP_2)
	v_fma_f64 v[184:185], v[156:157], v[124:125], -v[2:3]
	v_fma_f64 v[186:187], v[158:159], v[124:125], v[4:5]
	ds_load_b128 v[2:5], v255 offset:10560
	ds_load_b128 v[160:163], v255 offset:13200
	s_clause 0x1
	global_load_b128 v[156:159], v[0:1], off offset:2528
	global_load_b128 v[152:155], v[0:1], off offset:2544
	s_waitcnt vmcnt(2) lgkmcnt(1)
	v_mul_f64 v[14:15], v[4:5], v[130:131]
	s_delay_alu instid0(VALU_DEP_1) | instskip(SKIP_1) | instid1(VALU_DEP_1)
	v_fma_f64 v[188:189], v[2:3], v[128:129], -v[14:15]
	v_mul_f64 v[2:3], v[2:3], v[130:131]
	v_fma_f64 v[190:191], v[4:5], v[128:129], v[2:3]
	s_waitcnt vmcnt(1) lgkmcnt(0)
	v_mul_f64 v[2:3], v[162:163], v[158:159]
	s_delay_alu instid0(VALU_DEP_1) | instskip(SKIP_1) | instid1(VALU_DEP_1)
	v_fma_f64 v[192:193], v[160:161], v[156:157], -v[2:3]
	v_mul_f64 v[2:3], v[160:161], v[158:159]
	v_fma_f64 v[194:195], v[162:163], v[156:157], v[2:3]
	ds_load_b128 v[2:5], v255 offset:15840
	ds_load_b128 v[168:171], v255 offset:18480
	s_clause 0x1
	global_load_b128 v[160:163], v[0:1], off offset:2560
	global_load_b128 v[164:167], v[0:1], off offset:2576
	s_waitcnt vmcnt(2) lgkmcnt(1)
	v_mul_f64 v[14:15], v[4:5], v[154:155]
	s_delay_alu instid0(VALU_DEP_1) | instskip(SKIP_1) | instid1(VALU_DEP_2)
	v_fma_f64 v[196:197], v[2:3], v[152:153], -v[14:15]
	v_mul_f64 v[2:3], v[2:3], v[154:155]
	v_add_f64 v[144:145], v[192:193], v[196:197]
	s_delay_alu instid0(VALU_DEP_2) | instskip(NEXT) | instid1(VALU_DEP_1)
	v_fma_f64 v[198:199], v[4:5], v[152:153], v[2:3]
	v_add_f64 v[142:143], v[194:195], -v[198:199]
	v_add_f64 v[148:149], v[194:195], v[198:199]
	s_delay_alu instid0(VALU_DEP_2) | instskip(SKIP_2) | instid1(VALU_DEP_1)
	v_mul_f64 v[146:147], v[142:143], s[8:9]
	s_waitcnt vmcnt(1) lgkmcnt(0)
	v_mul_f64 v[2:3], v[170:171], v[162:163]
	v_fma_f64 v[200:201], v[168:169], v[160:161], -v[2:3]
	v_mul_f64 v[2:3], v[168:169], v[162:163]
	s_delay_alu instid0(VALU_DEP_2) | instskip(NEXT) | instid1(VALU_DEP_2)
	v_add_f64 v[249:250], v[188:189], v[200:201]
	v_fma_f64 v[202:203], v[170:171], v[160:161], v[2:3]
	ds_load_b128 v[2:5], v255 offset:21120
	ds_load_b128 v[210:213], v255 offset:23760
	s_clause 0x1
	global_load_b128 v[168:171], v[0:1], off offset:2592
	global_load_b128 v[172:175], v[0:1], off offset:2608
	v_add_f64 v[10:11], v[188:189], -v[200:201]
	s_waitcnt vmcnt(2) lgkmcnt(1)
	v_mul_f64 v[14:15], v[4:5], v[166:167]
	v_add_f64 v[42:43], v[190:191], -v[202:203]
	v_add_f64 v[251:252], v[190:191], v[202:203]
	s_delay_alu instid0(VALU_DEP_4) | instskip(NEXT) | instid1(VALU_DEP_4)
	v_mul_f64 v[140:141], v[10:11], s[10:11]
	v_fma_f64 v[204:205], v[2:3], v[164:165], -v[14:15]
	v_mul_f64 v[2:3], v[2:3], v[166:167]
	s_delay_alu instid0(VALU_DEP_2) | instskip(NEXT) | instid1(VALU_DEP_2)
	v_add_f64 v[40:41], v[184:185], -v[204:205]
	v_fma_f64 v[206:207], v[4:5], v[164:165], v[2:3]
	s_delay_alu instid0(VALU_DEP_1) | instskip(SKIP_2) | instid1(VALU_DEP_1)
	v_add_f64 v[38:39], v[186:187], -v[206:207]
	s_waitcnt vmcnt(1) lgkmcnt(0)
	v_mul_f64 v[0:1], v[212:213], v[170:171]
	v_fma_f64 v[208:209], v[210:211], v[168:169], -v[0:1]
	v_mul_f64 v[0:1], v[210:211], v[170:171]
	s_delay_alu instid0(VALU_DEP_2) | instskip(NEXT) | instid1(VALU_DEP_2)
	v_add_f64 v[243:244], v[180:181], -v[208:209]
	v_fma_f64 v[210:211], v[212:213], v[168:169], v[0:1]
	ds_load_b128 v[0:3], v255 offset:26400
	s_waitcnt vmcnt(0) lgkmcnt(0)
	v_mul_f64 v[4:5], v[0:1], v[174:175]
	s_delay_alu instid0(VALU_DEP_1) | instskip(SKIP_1) | instid1(VALU_DEP_2)
	v_fma_f64 v[212:213], v[2:3], v[172:173], v[4:5]
	v_mul_f64 v[2:3], v[2:3], v[174:175]
	v_add_f64 v[227:228], v[12:13], v[212:213]
	s_delay_alu instid0(VALU_DEP_2) | instskip(SKIP_1) | instid1(VALU_DEP_2)
	v_fma_f64 v[214:215], v[0:1], v[172:173], -v[2:3]
	v_add_f64 v[0:1], v[12:13], -v[212:213]
	v_add_f64 v[18:19], v[6:7], v[214:215]
	s_delay_alu instid0(VALU_DEP_2)
	v_mul_f64 v[2:3], v[0:1], s[26:27]
	v_mul_f64 v[4:5], v[0:1], s[14:15]
	;; [unrolled: 1-line block ×5, first 2 shown]
	v_fma_f64 v[20:21], v[18:19], s[24:25], -v[2:3]
	v_fma_f64 v[2:3], v[18:19], s[24:25], v[2:3]
	v_fma_f64 v[22:23], v[18:19], s[20:21], -v[4:5]
	v_fma_f64 v[4:5], v[18:19], s[20:21], v[4:5]
	;; [unrolled: 2-line block ×5, first 2 shown]
	v_add_f64 v[0:1], v[6:7], -v[214:215]
	v_add_f64 v[22:23], v[220:221], v[22:23]
	v_add_f64 v[34:35], v[220:221], v[4:5]
	;; [unrolled: 1-line block ×3, first 2 shown]
	v_mul_f64 v[24:25], v[38:39], s[16:17]
	v_add_f64 v[247:248], v[220:221], v[26:27]
	v_mul_f64 v[26:27], v[40:41], s[16:17]
	v_mul_f64 v[30:31], v[0:1], s[26:27]
	;; [unrolled: 1-line block ×6, first 2 shown]
	v_fma_f64 v[229:230], v[227:228], s[24:25], v[30:31]
	v_fma_f64 v[233:234], v[227:228], s[20:21], -v[216:217]
	v_fma_f64 v[237:238], v[227:228], s[22:23], -v[218:219]
	v_fma_f64 v[239:240], v[227:228], s[18:19], v[225:226]
	v_fma_f64 v[241:242], v[227:228], s[12:13], v[0:1]
	v_fma_f64 v[225:226], v[227:228], s[18:19], -v[225:226]
	v_fma_f64 v[30:31], v[227:228], s[24:25], -v[30:31]
	v_fma_f64 v[231:232], v[227:228], s[20:21], v[216:217]
	v_fma_f64 v[235:236], v[227:228], s[22:23], v[218:219]
	v_fma_f64 v[227:228], v[227:228], s[12:13], -v[0:1]
	v_add_f64 v[0:1], v[220:221], v[6:7]
	v_add_f64 v[218:219], v[222:223], v[12:13]
	;; [unrolled: 1-line block ×9, first 2 shown]
	v_add_f64 v[241:242], v[182:183], -v[210:211]
	v_add_f64 v[239:240], v[220:221], v[16:17]
	v_add_f64 v[237:238], v[222:223], v[225:226]
	;; [unrolled: 1-line block ×4, first 2 shown]
	scratch_store_b64 off, v[0:1], off offset:268 ; 8-byte Folded Spill
	v_add_f64 v[32:33], v[222:223], v[231:232]
	v_add_f64 v[2:3], v[222:223], v[235:236]
	;; [unrolled: 1-line block ×7, first 2 shown]
	v_mul_f64 v[18:19], v[243:244], s[14:15]
	v_add_f64 v[229:230], v[184:185], v[204:205]
	v_add_f64 v[231:232], v[186:187], v[206:207]
	v_mul_f64 v[28:29], v[42:43], s[10:11]
	v_mul_f64 v[16:17], v[241:242], s[14:15]
	s_delay_alu instid0(VALU_DEP_1) | instskip(SKIP_1) | instid1(VALU_DEP_2)
	v_fma_f64 v[14:15], v[225:226], s[20:21], -v[16:17]
	v_fma_f64 v[16:17], v[225:226], s[20:21], v[16:17]
	v_add_f64 v[6:7], v[14:15], v[6:7]
	v_fma_f64 v[14:15], v[227:228], s[20:21], v[18:19]
	s_delay_alu instid0(VALU_DEP_3) | instskip(SKIP_2) | instid1(VALU_DEP_4)
	v_add_f64 v[16:17], v[16:17], v[20:21]
	v_fma_f64 v[18:19], v[227:228], s[20:21], -v[18:19]
	v_fma_f64 v[20:21], v[229:230], s[22:23], v[24:25]
	v_add_f64 v[12:13], v[14:15], v[12:13]
	v_fma_f64 v[14:15], v[229:230], s[22:23], -v[24:25]
	s_delay_alu instid0(VALU_DEP_4) | instskip(NEXT) | instid1(VALU_DEP_4)
	v_add_f64 v[18:19], v[18:19], v[30:31]
	v_add_f64 v[16:17], v[20:21], v[16:17]
	v_fma_f64 v[20:21], v[231:232], s[22:23], -v[26:27]
	s_delay_alu instid0(VALU_DEP_4) | instskip(SKIP_2) | instid1(VALU_DEP_4)
	v_add_f64 v[6:7], v[14:15], v[6:7]
	v_fma_f64 v[14:15], v[231:232], s[22:23], v[26:27]
	v_mul_f64 v[26:27], v[243:244], s[10:11]
	v_add_f64 v[18:19], v[20:21], v[18:19]
	v_fma_f64 v[20:21], v[249:250], s[18:19], v[28:29]
	s_delay_alu instid0(VALU_DEP_4) | instskip(SKIP_2) | instid1(VALU_DEP_4)
	v_add_f64 v[12:13], v[14:15], v[12:13]
	v_fma_f64 v[14:15], v[249:250], s[18:19], -v[28:29]
	v_mul_f64 v[28:29], v[38:39], s[36:37]
	v_add_f64 v[16:17], v[20:21], v[16:17]
	v_fma_f64 v[20:21], v[251:252], s[18:19], -v[140:141]
	s_delay_alu instid0(VALU_DEP_4) | instskip(SKIP_2) | instid1(VALU_DEP_4)
	v_add_f64 v[6:7], v[14:15], v[6:7]
	v_fma_f64 v[14:15], v[251:252], s[18:19], v[140:141]
	v_fma_f64 v[30:31], v[229:230], s[12:13], -v[28:29]
	v_add_f64 v[18:19], v[20:21], v[18:19]
	v_fma_f64 v[20:21], v[144:145], s[12:13], v[146:147]
	v_fma_f64 v[28:29], v[229:230], s[12:13], v[28:29]
	v_add_f64 v[14:15], v[14:15], v[12:13]
	v_fma_f64 v[12:13], v[144:145], s[12:13], -v[146:147]
	s_delay_alu instid0(VALU_DEP_4) | instskip(NEXT) | instid1(VALU_DEP_2)
	v_add_f64 v[16:17], v[20:21], v[16:17]
	v_add_f64 v[12:13], v[12:13], v[6:7]
	v_add_f64 v[6:7], v[192:193], -v[196:197]
	s_delay_alu instid0(VALU_DEP_1) | instskip(NEXT) | instid1(VALU_DEP_1)
	v_mul_f64 v[150:151], v[6:7], s[8:9]
	v_fma_f64 v[24:25], v[148:149], s[12:13], -v[150:151]
	v_fma_f64 v[216:217], v[148:149], s[12:13], v[150:151]
	s_delay_alu instid0(VALU_DEP_2) | instskip(SKIP_1) | instid1(VALU_DEP_3)
	v_add_f64 v[18:19], v[24:25], v[18:19]
	v_mul_f64 v[24:25], v[241:242], s[10:11]
	v_add_f64 v[14:15], v[216:217], v[14:15]
	s_delay_alu instid0(VALU_DEP_2) | instskip(SKIP_1) | instid1(VALU_DEP_2)
	v_fma_f64 v[20:21], v[225:226], s[18:19], -v[24:25]
	v_fma_f64 v[24:25], v[225:226], s[18:19], v[24:25]
	v_add_f64 v[20:21], v[20:21], v[22:23]
	v_fma_f64 v[22:23], v[227:228], s[18:19], v[26:27]
	s_delay_alu instid0(VALU_DEP_3) | instskip(SKIP_1) | instid1(VALU_DEP_4)
	v_add_f64 v[24:25], v[24:25], v[34:35]
	v_fma_f64 v[26:27], v[227:228], s[18:19], -v[26:27]
	v_add_f64 v[20:21], v[30:31], v[20:21]
	v_mul_f64 v[30:31], v[40:41], s[36:37]
	v_add_f64 v[22:23], v[22:23], v[32:33]
	s_delay_alu instid0(VALU_DEP_4) | instskip(SKIP_1) | instid1(VALU_DEP_4)
	v_add_f64 v[26:27], v[26:27], v[36:37]
	v_add_f64 v[24:25], v[28:29], v[24:25]
	v_fma_f64 v[32:33], v[231:232], s[12:13], v[30:31]
	v_fma_f64 v[28:29], v[231:232], s[12:13], -v[30:31]
	s_delay_alu instid0(VALU_DEP_2) | instskip(SKIP_1) | instid1(VALU_DEP_3)
	v_add_f64 v[22:23], v[32:33], v[22:23]
	v_mul_f64 v[32:33], v[42:43], s[28:29]
	v_add_f64 v[26:27], v[28:29], v[26:27]
	s_delay_alu instid0(VALU_DEP_2) | instskip(SKIP_1) | instid1(VALU_DEP_2)
	v_fma_f64 v[140:141], v[249:250], s[22:23], -v[32:33]
	v_fma_f64 v[28:29], v[249:250], s[22:23], v[32:33]
	v_add_f64 v[20:21], v[140:141], v[20:21]
	v_mul_f64 v[140:141], v[10:11], s[28:29]
	s_delay_alu instid0(VALU_DEP_3) | instskip(NEXT) | instid1(VALU_DEP_2)
	v_add_f64 v[24:25], v[28:29], v[24:25]
	v_fma_f64 v[146:147], v[251:252], s[22:23], v[140:141]
	v_fma_f64 v[28:29], v[251:252], s[22:23], -v[140:141]
	s_delay_alu instid0(VALU_DEP_2) | instskip(SKIP_1) | instid1(VALU_DEP_3)
	v_add_f64 v[22:23], v[146:147], v[22:23]
	v_mul_f64 v[146:147], v[142:143], s[30:31]
	v_add_f64 v[26:27], v[28:29], v[26:27]
	s_delay_alu instid0(VALU_DEP_2) | instskip(SKIP_1) | instid1(VALU_DEP_2)
	v_fma_f64 v[150:151], v[144:145], s[24:25], -v[146:147]
	v_fma_f64 v[28:29], v[144:145], s[24:25], v[146:147]
	v_add_f64 v[20:21], v[150:151], v[20:21]
	v_mul_f64 v[150:151], v[6:7], s[30:31]
	s_delay_alu instid0(VALU_DEP_3) | instskip(SKIP_1) | instid1(VALU_DEP_3)
	v_add_f64 v[24:25], v[28:29], v[24:25]
	v_mul_f64 v[28:29], v[241:242], s[36:37]
	v_fma_f64 v[30:31], v[148:149], s[24:25], -v[150:151]
	v_fma_f64 v[216:217], v[148:149], s[24:25], v[150:151]
	v_mul_f64 v[150:151], v[142:143], s[10:11]
	s_delay_alu instid0(VALU_DEP_3) | instskip(SKIP_4) | instid1(VALU_DEP_4)
	v_add_f64 v[26:27], v[30:31], v[26:27]
	v_fma_f64 v[30:31], v[225:226], s[12:13], -v[28:29]
	v_fma_f64 v[28:29], v[225:226], s[12:13], v[28:29]
	v_add_f64 v[22:23], v[216:217], v[22:23]
	v_mul_f64 v[216:217], v[6:7], s[10:11]
	v_add_f64 v[4:5], v[30:31], v[4:5]
	v_mul_f64 v[30:31], v[243:244], s[36:37]
	v_add_f64 v[0:1], v[28:29], v[0:1]
	s_delay_alu instid0(VALU_DEP_2) | instskip(SKIP_1) | instid1(VALU_DEP_2)
	v_fma_f64 v[32:33], v[227:228], s[12:13], v[30:31]
	v_fma_f64 v[28:29], v[227:228], s[12:13], -v[30:31]
	v_add_f64 v[2:3], v[32:33], v[2:3]
	v_mul_f64 v[32:33], v[38:39], s[34:35]
	s_delay_alu instid0(VALU_DEP_3) | instskip(SKIP_1) | instid1(VALU_DEP_3)
	v_add_f64 v[28:29], v[28:29], v[253:254]
	v_mul_f64 v[253:254], v[142:143], s[34:35]
	v_fma_f64 v[34:35], v[229:230], s[20:21], -v[32:33]
	v_fma_f64 v[30:31], v[229:230], s[20:21], v[32:33]
	v_fma_f64 v[32:33], v[148:149], s[18:19], -v[216:217]
	s_delay_alu instid0(VALU_DEP_3) | instskip(SKIP_1) | instid1(VALU_DEP_4)
	v_add_f64 v[4:5], v[34:35], v[4:5]
	v_mul_f64 v[34:35], v[40:41], s[34:35]
	v_add_f64 v[0:1], v[30:31], v[0:1]
	s_delay_alu instid0(VALU_DEP_2) | instskip(SKIP_2) | instid1(VALU_DEP_3)
	v_fma_f64 v[36:37], v[231:232], s[20:21], v[34:35]
	v_fma_f64 v[30:31], v[231:232], s[20:21], -v[34:35]
	v_mul_f64 v[34:35], v[243:244], s[28:29]
	v_add_f64 v[2:3], v[36:37], v[2:3]
	v_mul_f64 v[36:37], v[42:43], s[26:27]
	s_delay_alu instid0(VALU_DEP_4) | instskip(NEXT) | instid1(VALU_DEP_2)
	v_add_f64 v[28:29], v[30:31], v[28:29]
	v_fma_f64 v[140:141], v[249:250], s[24:25], -v[36:37]
	v_fma_f64 v[30:31], v[249:250], s[24:25], v[36:37]
	v_fma_f64 v[36:37], v[227:228], s[22:23], v[34:35]
	v_fma_f64 v[34:35], v[227:228], s[22:23], -v[34:35]
	s_delay_alu instid0(VALU_DEP_4) | instskip(SKIP_4) | instid1(VALU_DEP_4)
	v_add_f64 v[4:5], v[140:141], v[4:5]
	v_mul_f64 v[140:141], v[10:11], s[26:27]
	v_add_f64 v[0:1], v[30:31], v[0:1]
	v_add_f64 v[36:37], v[36:37], v[245:246]
	v_add_f64 v[34:35], v[34:35], v[237:238]
	v_fma_f64 v[30:31], v[251:252], s[24:25], -v[140:141]
	v_fma_f64 v[146:147], v[251:252], s[24:25], v[140:141]
	v_mul_f64 v[140:141], v[38:39], s[26:27]
	v_mul_f64 v[38:39], v[38:39], s[10:11]
	s_delay_alu instid0(VALU_DEP_4) | instskip(SKIP_3) | instid1(VALU_DEP_4)
	v_add_f64 v[30:31], v[30:31], v[28:29]
	v_fma_f64 v[28:29], v[144:145], s[18:19], v[150:151]
	v_add_f64 v[146:147], v[146:147], v[2:3]
	v_fma_f64 v[2:3], v[144:145], s[18:19], -v[150:151]
	v_add_f64 v[30:31], v[32:33], v[30:31]
	s_delay_alu instid0(VALU_DEP_4) | instskip(SKIP_1) | instid1(VALU_DEP_4)
	v_add_f64 v[28:29], v[28:29], v[0:1]
	v_mul_f64 v[0:1], v[241:242], s[28:29]
	v_add_f64 v[2:3], v[2:3], v[4:5]
	v_fma_f64 v[4:5], v[148:149], s[18:19], v[216:217]
	s_delay_alu instid0(VALU_DEP_3) | instskip(SKIP_1) | instid1(VALU_DEP_3)
	v_fma_f64 v[32:33], v[225:226], s[22:23], -v[0:1]
	v_fma_f64 v[0:1], v[225:226], s[22:23], v[0:1]
	v_add_f64 v[4:5], v[4:5], v[146:147]
	v_fma_f64 v[146:147], v[229:230], s[24:25], -v[140:141]
	s_delay_alu instid0(VALU_DEP_4) | instskip(NEXT) | instid1(VALU_DEP_4)
	v_add_f64 v[32:33], v[32:33], v[247:248]
	v_add_f64 v[0:1], v[0:1], v[239:240]
	s_delay_alu instid0(VALU_DEP_2) | instskip(SKIP_2) | instid1(VALU_DEP_2)
	v_add_f64 v[32:33], v[146:147], v[32:33]
	v_mul_f64 v[146:147], v[40:41], s[26:27]
	v_mul_f64 v[40:41], v[40:41], s[10:11]
	v_fma_f64 v[150:151], v[231:232], s[24:25], v[146:147]
	s_delay_alu instid0(VALU_DEP_1) | instskip(SKIP_2) | instid1(VALU_DEP_2)
	v_add_f64 v[36:37], v[150:151], v[36:37]
	v_mul_f64 v[150:151], v[42:43], s[8:9]
	v_mul_f64 v[42:43], v[42:43], s[34:35]
	v_fma_f64 v[216:217], v[249:250], s[12:13], -v[150:151]
	s_delay_alu instid0(VALU_DEP_1) | instskip(SKIP_2) | instid1(VALU_DEP_2)
	v_add_f64 v[32:33], v[216:217], v[32:33]
	v_mul_f64 v[216:217], v[10:11], s[8:9]
	v_mul_f64 v[10:11], v[10:11], s[34:35]
	v_fma_f64 v[245:246], v[251:252], s[12:13], v[216:217]
	s_delay_alu instid0(VALU_DEP_1) | instskip(SKIP_1) | instid1(VALU_DEP_1)
	v_add_f64 v[36:37], v[245:246], v[36:37]
	v_fma_f64 v[245:246], v[144:145], s[20:21], -v[253:254]
	v_add_f64 v[245:246], v[245:246], v[32:33]
	v_mul_f64 v[32:33], v[6:7], s[34:35]
	v_mul_f64 v[6:7], v[6:7], s[16:17]
	s_delay_alu instid0(VALU_DEP_2) | instskip(SKIP_1) | instid1(VALU_DEP_2)
	v_fma_f64 v[247:248], v[148:149], s[20:21], v[32:33]
	v_fma_f64 v[32:33], v[148:149], s[20:21], -v[32:33]
	v_add_f64 v[247:248], v[247:248], v[36:37]
	v_fma_f64 v[36:37], v[229:230], s[24:25], v[140:141]
	v_fma_f64 v[140:141], v[229:230], s[18:19], -v[38:39]
	s_delay_alu instid0(VALU_DEP_2) | instskip(SKIP_1) | instid1(VALU_DEP_1)
	v_add_f64 v[0:1], v[36:37], v[0:1]
	v_fma_f64 v[36:37], v[231:232], s[24:25], -v[146:147]
	v_add_f64 v[34:35], v[36:37], v[34:35]
	v_fma_f64 v[36:37], v[249:250], s[12:13], v[150:151]
	s_delay_alu instid0(VALU_DEP_1) | instskip(SKIP_1) | instid1(VALU_DEP_1)
	v_add_f64 v[0:1], v[36:37], v[0:1]
	v_fma_f64 v[36:37], v[251:252], s[12:13], -v[216:217]
	v_add_f64 v[34:35], v[36:37], v[34:35]
	v_fma_f64 v[36:37], v[144:145], s[20:21], v[253:254]
	s_delay_alu instid0(VALU_DEP_2) | instskip(NEXT) | instid1(VALU_DEP_2)
	v_add_f64 v[239:240], v[32:33], v[34:35]
	v_add_f64 v[237:238], v[36:37], v[0:1]
	v_mul_f64 v[0:1], v[241:242], s[30:31]
	v_mul_f64 v[34:35], v[243:244], s[30:31]
	s_delay_alu instid0(VALU_DEP_2) | instskip(NEXT) | instid1(VALU_DEP_2)
	v_fma_f64 v[32:33], v[225:226], s[24:25], -v[0:1]
	v_fma_f64 v[36:37], v[227:228], s[24:25], v[34:35]
	v_fma_f64 v[0:1], v[225:226], s[24:25], v[0:1]
	s_delay_alu instid0(VALU_DEP_3) | instskip(NEXT) | instid1(VALU_DEP_3)
	v_add_f64 v[32:33], v[32:33], v[235:236]
	v_add_f64 v[36:37], v[36:37], v[233:234]
	s_delay_alu instid0(VALU_DEP_3) | instskip(NEXT) | instid1(VALU_DEP_3)
	v_add_f64 v[0:1], v[0:1], v[220:221]
	v_add_f64 v[32:33], v[140:141], v[32:33]
	v_fma_f64 v[140:141], v[231:232], s[18:19], v[40:41]
	s_delay_alu instid0(VALU_DEP_1) | instskip(SKIP_1) | instid1(VALU_DEP_1)
	v_add_f64 v[36:37], v[140:141], v[36:37]
	v_fma_f64 v[140:141], v[249:250], s[20:21], -v[42:43]
	v_add_f64 v[32:33], v[140:141], v[32:33]
	v_fma_f64 v[140:141], v[251:252], s[20:21], v[10:11]
	v_fma_f64 v[10:11], v[251:252], s[20:21], -v[10:11]
	s_delay_alu instid0(VALU_DEP_2) | instskip(SKIP_1) | instid1(VALU_DEP_1)
	v_add_f64 v[36:37], v[140:141], v[36:37]
	v_mul_f64 v[140:141], v[142:143], s[16:17]
	v_fma_f64 v[142:143], v[144:145], s[22:23], -v[140:141]
	s_delay_alu instid0(VALU_DEP_1) | instskip(SKIP_2) | instid1(VALU_DEP_2)
	v_add_f64 v[233:234], v[142:143], v[32:33]
	v_fma_f64 v[32:33], v[148:149], s[22:23], v[6:7]
	v_fma_f64 v[6:7], v[148:149], s[22:23], -v[6:7]
	v_add_f64 v[235:236], v[32:33], v[36:37]
	v_fma_f64 v[32:33], v[227:228], s[24:25], -v[34:35]
	v_fma_f64 v[34:35], v[229:230], s[18:19], v[38:39]
	v_fma_f64 v[38:39], v[249:250], s[20:21], v[42:43]
	v_fma_f64 v[36:37], v[231:232], s[18:19], -v[40:41]
	s_delay_alu instid0(VALU_DEP_4) | instskip(NEXT) | instid1(VALU_DEP_4)
	v_add_f64 v[32:33], v[32:33], v[222:223]
	v_add_f64 v[0:1], v[34:35], v[0:1]
	v_fma_f64 v[34:35], v[144:145], s[22:23], v[140:141]
	s_delay_alu instid0(VALU_DEP_3) | instskip(NEXT) | instid1(VALU_DEP_3)
	v_add_f64 v[32:33], v[36:37], v[32:33]
	v_add_f64 v[0:1], v[38:39], v[0:1]
	s_delay_alu instid0(VALU_DEP_2) | instskip(NEXT) | instid1(VALU_DEP_2)
	v_add_f64 v[10:11], v[10:11], v[32:33]
	v_add_f64 v[220:221], v[34:35], v[0:1]
	scratch_load_b64 v[0:1], off, off offset:268 ; 8-byte Folded Reload
	v_add_f64 v[222:223], v[6:7], v[10:11]
	v_add_f64 v[6:7], v[218:219], v[182:183]
	s_delay_alu instid0(VALU_DEP_1) | instskip(NEXT) | instid1(VALU_DEP_1)
	v_add_f64 v[6:7], v[6:7], v[186:187]
	v_add_f64 v[6:7], v[6:7], v[190:191]
	s_delay_alu instid0(VALU_DEP_1) | instskip(NEXT) | instid1(VALU_DEP_1)
	;; [unrolled: 3-line block ×3, first 2 shown]
	v_add_f64 v[6:7], v[6:7], v[202:203]
	v_add_f64 v[6:7], v[6:7], v[206:207]
	s_delay_alu instid0(VALU_DEP_1) | instskip(SKIP_2) | instid1(VALU_DEP_2)
	v_add_f64 v[6:7], v[6:7], v[210:211]
	s_waitcnt vmcnt(0)
	v_add_f64 v[0:1], v[0:1], v[180:181]
	v_add_f64 v[182:183], v[6:7], v[212:213]
	s_delay_alu instid0(VALU_DEP_2) | instskip(NEXT) | instid1(VALU_DEP_1)
	v_add_f64 v[0:1], v[0:1], v[184:185]
	v_add_f64 v[0:1], v[0:1], v[188:189]
	s_delay_alu instid0(VALU_DEP_1) | instskip(NEXT) | instid1(VALU_DEP_1)
	v_add_f64 v[0:1], v[0:1], v[192:193]
	v_add_f64 v[0:1], v[0:1], v[196:197]
	s_delay_alu instid0(VALU_DEP_1) | instskip(NEXT) | instid1(VALU_DEP_1)
	v_add_f64 v[0:1], v[0:1], v[200:201]
	v_add_f64 v[0:1], v[0:1], v[204:205]
	s_delay_alu instid0(VALU_DEP_1) | instskip(NEXT) | instid1(VALU_DEP_1)
	v_add_f64 v[0:1], v[0:1], v[208:209]
	v_add_f64 v[180:181], v[0:1], v[214:215]
	v_add_co_u32 v0, s1, 0x7000, v8
	s_delay_alu instid0(VALU_DEP_1)
	v_add_co_ci_u32_e64 v1, s1, 0, v9, s1
	ds_store_b128 v255, v[20:23] offset:5280
	ds_store_b128 v255, v[2:5] offset:7920
	;; [unrolled: 1-line block ×10, first 2 shown]
	ds_store_b128 v255, v[180:183]
	v_add_co_u32 v4, s1, 0x7170, v8
	s_delay_alu instid0(VALU_DEP_1)
	v_add_co_ci_u32_e64 v5, s1, 0, v9, s1
	s_waitcnt lgkmcnt(0)
	s_waitcnt_vscnt null, 0x0
	s_barrier
	buffer_gl0_inv
	s_clause 0x1
	global_load_b128 v[0:3], v[0:1], off offset:368
	global_load_b128 v[4:7], v[4:5], off offset:2640
	ds_load_b128 v[12:15], v255
	ds_load_b128 v[16:19], v255 offset:2640
	s_waitcnt vmcnt(1) lgkmcnt(1)
	v_mul_f64 v[10:11], v[14:15], v[2:3]
	v_mul_f64 v[2:3], v[12:13], v[2:3]
	s_delay_alu instid0(VALU_DEP_2) | instskip(NEXT) | instid1(VALU_DEP_2)
	v_fma_f64 v[180:181], v[12:13], v[0:1], -v[10:11]
	v_fma_f64 v[182:183], v[14:15], v[0:1], v[2:3]
	s_waitcnt vmcnt(0) lgkmcnt(0)
	v_mul_f64 v[0:1], v[18:19], v[6:7]
	v_mul_f64 v[2:3], v[16:17], v[6:7]
	s_delay_alu instid0(VALU_DEP_2) | instskip(SKIP_1) | instid1(VALU_DEP_1)
	v_fma_f64 v[184:185], v[16:17], v[4:5], -v[0:1]
	v_add_co_u32 v0, s1, 0x8000, v8
	v_add_co_ci_u32_e64 v1, s1, 0, v9, s1
	v_add_co_u32 v10, s1, 0x9000, v8
	s_delay_alu instid0(VALU_DEP_1)
	v_add_co_ci_u32_e64 v11, s1, 0, v9, s1
	v_fma_f64 v[186:187], v[18:19], v[4:5], v[2:3]
	s_clause 0x1
	global_load_b128 v[0:3], v[0:1], off offset:1552
	global_load_b128 v[4:7], v[10:11], off offset:96
	ds_load_b128 v[12:15], v255 offset:5280
	ds_load_b128 v[16:19], v255 offset:7920
	v_add_co_u32 v28, s1, 0xa000, v8
	s_delay_alu instid0(VALU_DEP_1) | instskip(SKIP_3) | instid1(VALU_DEP_2)
	v_add_co_ci_u32_e64 v29, s1, 0, v9, s1
	s_waitcnt vmcnt(1) lgkmcnt(1)
	v_mul_f64 v[20:21], v[14:15], v[2:3]
	v_mul_f64 v[2:3], v[12:13], v[2:3]
	v_fma_f64 v[12:13], v[12:13], v[0:1], -v[20:21]
	s_delay_alu instid0(VALU_DEP_2) | instskip(SKIP_3) | instid1(VALU_DEP_2)
	v_fma_f64 v[14:15], v[14:15], v[0:1], v[2:3]
	s_waitcnt vmcnt(0) lgkmcnt(0)
	v_mul_f64 v[0:1], v[18:19], v[6:7]
	v_mul_f64 v[2:3], v[16:17], v[6:7]
	v_fma_f64 v[0:1], v[16:17], v[4:5], -v[0:1]
	s_delay_alu instid0(VALU_DEP_2)
	v_fma_f64 v[2:3], v[18:19], v[4:5], v[2:3]
	s_clause 0x1
	global_load_b128 v[4:7], v[10:11], off offset:2736
	global_load_b128 v[16:19], v[28:29], off offset:1280
	ds_load_b128 v[20:23], v255 offset:10560
	ds_load_b128 v[24:27], v255 offset:13200
	s_waitcnt vmcnt(1) lgkmcnt(1)
	v_mul_f64 v[10:11], v[22:23], v[6:7]
	v_mul_f64 v[6:7], v[20:21], v[6:7]
	s_delay_alu instid0(VALU_DEP_2) | instskip(NEXT) | instid1(VALU_DEP_2)
	v_fma_f64 v[20:21], v[20:21], v[4:5], -v[10:11]
	v_fma_f64 v[22:23], v[22:23], v[4:5], v[6:7]
	s_waitcnt vmcnt(0) lgkmcnt(0)
	v_mul_f64 v[4:5], v[26:27], v[18:19]
	v_mul_f64 v[6:7], v[24:25], v[18:19]
	v_add_co_u32 v10, s1, 0xb000, v8
	s_delay_alu instid0(VALU_DEP_1) | instskip(NEXT) | instid1(VALU_DEP_4)
	v_add_co_ci_u32_e64 v11, s1, 0, v9, s1
	v_fma_f64 v[4:5], v[24:25], v[16:17], -v[4:5]
	s_delay_alu instid0(VALU_DEP_4)
	v_fma_f64 v[6:7], v[26:27], v[16:17], v[6:7]
	s_clause 0x1
	global_load_b128 v[16:19], v[28:29], off offset:3920
	global_load_b128 v[24:27], v[10:11], off offset:2464
	ds_load_b128 v[28:31], v255 offset:15840
	ds_load_b128 v[188:191], v255 offset:18480
	s_waitcnt vmcnt(1) lgkmcnt(1)
	v_mul_f64 v[10:11], v[30:31], v[18:19]
	v_mul_f64 v[18:19], v[28:29], v[18:19]
	s_delay_alu instid0(VALU_DEP_2) | instskip(SKIP_2) | instid1(VALU_DEP_3)
	v_fma_f64 v[28:29], v[28:29], v[16:17], -v[10:11]
	s_waitcnt vmcnt(0) lgkmcnt(0)
	v_mul_f64 v[10:11], v[190:191], v[26:27]
	v_fma_f64 v[30:31], v[30:31], v[16:17], v[18:19]
	v_mul_f64 v[18:19], v[188:189], v[26:27]
	s_delay_alu instid0(VALU_DEP_3) | instskip(SKIP_1) | instid1(VALU_DEP_1)
	v_fma_f64 v[16:17], v[188:189], v[24:25], -v[10:11]
	v_add_co_u32 v10, s1, 0xc000, v8
	v_add_co_ci_u32_e64 v11, s1, 0, v9, s1
	s_delay_alu instid0(VALU_DEP_4)
	v_fma_f64 v[18:19], v[190:191], v[24:25], v[18:19]
	s_clause 0x1
	global_load_b128 v[24:27], v[10:11], off offset:1008
	global_load_b128 v[188:191], v[10:11], off offset:3648
	ds_load_b128 v[192:195], v255 offset:21120
	ds_load_b128 v[196:199], v255 offset:23760
	v_add_co_u32 v8, s1, 0xd000, v8
	s_delay_alu instid0(VALU_DEP_1) | instskip(SKIP_3) | instid1(VALU_DEP_2)
	v_add_co_ci_u32_e64 v9, s1, 0, v9, s1
	s_waitcnt vmcnt(1) lgkmcnt(1)
	v_mul_f64 v[10:11], v[194:195], v[26:27]
	v_mul_f64 v[26:27], v[192:193], v[26:27]
	v_fma_f64 v[192:193], v[192:193], v[24:25], -v[10:11]
	s_delay_alu instid0(VALU_DEP_2) | instskip(SKIP_3) | instid1(VALU_DEP_2)
	v_fma_f64 v[194:195], v[194:195], v[24:25], v[26:27]
	s_waitcnt vmcnt(0) lgkmcnt(0)
	v_mul_f64 v[10:11], v[198:199], v[190:191]
	v_mul_f64 v[26:27], v[196:197], v[190:191]
	v_fma_f64 v[24:25], v[196:197], v[188:189], -v[10:11]
	s_delay_alu instid0(VALU_DEP_2)
	v_fma_f64 v[26:27], v[198:199], v[188:189], v[26:27]
	global_load_b128 v[188:191], v[8:9], off offset:2192
	ds_load_b128 v[196:199], v255 offset:26400
	s_waitcnt vmcnt(0) lgkmcnt(0)
	v_mul_f64 v[8:9], v[198:199], v[190:191]
	v_mul_f64 v[10:11], v[196:197], v[190:191]
	s_delay_alu instid0(VALU_DEP_2) | instskip(NEXT) | instid1(VALU_DEP_2)
	v_fma_f64 v[196:197], v[196:197], v[188:189], -v[8:9]
	v_fma_f64 v[198:199], v[198:199], v[188:189], v[10:11]
	ds_store_b128 v255, v[180:183]
	ds_store_b128 v255, v[184:187] offset:2640
	ds_store_b128 v255, v[12:15] offset:5280
	;; [unrolled: 1-line block ×10, first 2 shown]
	s_waitcnt lgkmcnt(0)
	s_barrier
	buffer_gl0_inv
	ds_load_b128 v[180:183], v255
	ds_load_b128 v[184:187], v255 offset:2640
	ds_load_b128 v[188:191], v255 offset:5280
	ds_load_b128 v[192:195], v255 offset:7920
	s_waitcnt lgkmcnt(2)
	v_add_f64 v[0:1], v[180:181], v[184:185]
	v_add_f64 v[2:3], v[182:183], v[186:187]
	s_waitcnt lgkmcnt(1)
	s_delay_alu instid0(VALU_DEP_2) | instskip(NEXT) | instid1(VALU_DEP_2)
	v_add_f64 v[0:1], v[0:1], v[188:189]
	v_add_f64 v[2:3], v[2:3], v[190:191]
	s_waitcnt lgkmcnt(0)
	s_delay_alu instid0(VALU_DEP_2) | instskip(NEXT) | instid1(VALU_DEP_2)
	v_add_f64 v[4:5], v[0:1], v[192:193]
	v_add_f64 v[6:7], v[2:3], v[194:195]
	ds_load_b128 v[196:199], v255 offset:10560
	ds_load_b128 v[0:3], v255 offset:13200
	s_waitcnt lgkmcnt(1)
	v_add_f64 v[4:5], v[4:5], v[196:197]
	v_add_f64 v[6:7], v[6:7], v[198:199]
	s_waitcnt lgkmcnt(0)
	s_delay_alu instid0(VALU_DEP_2) | instskip(NEXT) | instid1(VALU_DEP_2)
	v_add_f64 v[8:9], v[4:5], v[0:1]
	v_add_f64 v[10:11], v[6:7], v[2:3]
	ds_load_b128 v[4:7], v255 offset:15840
	ds_load_b128 v[12:15], v255 offset:18480
	s_waitcnt lgkmcnt(1)
	v_add_f64 v[200:201], v[0:1], v[4:5]
	v_add_f64 v[32:33], v[2:3], v[6:7]
	v_add_f64 v[202:203], v[0:1], -v[4:5]
	v_add_f64 v[34:35], v[2:3], -v[6:7]
	s_waitcnt lgkmcnt(0)
	v_add_f64 v[204:205], v[196:197], v[12:13]
	v_add_f64 v[196:197], v[196:197], -v[12:13]
	v_add_f64 v[0:1], v[8:9], v[4:5]
	v_add_f64 v[2:3], v[10:11], v[6:7]
	;; [unrolled: 1-line block ×3, first 2 shown]
	v_add_f64 v[10:11], v[198:199], -v[14:15]
	v_mul_f64 v[231:232], v[32:33], s[12:13]
	v_mul_f64 v[229:230], v[34:35], s[8:9]
	v_add_f64 v[12:13], v[0:1], v[12:13]
	v_add_f64 v[14:15], v[2:3], v[14:15]
	ds_load_b128 v[0:3], v255 offset:21120
	ds_load_b128 v[4:7], v255 offset:23760
	v_mul_f64 v[225:226], v[10:11], s[10:11]
	v_mul_f64 v[227:228], v[8:9], s[18:19]
	s_waitcnt lgkmcnt(1)
	v_add_f64 v[198:199], v[192:193], v[0:1]
	v_add_f64 v[36:37], v[194:195], v[2:3]
	v_add_f64 v[192:193], v[192:193], -v[0:1]
	v_add_f64 v[38:39], v[194:195], -v[2:3]
	s_waitcnt lgkmcnt(0)
	v_add_f64 v[194:195], v[188:189], v[4:5]
	v_add_f64 v[40:41], v[190:191], v[6:7]
	v_add_f64 v[206:207], v[188:189], -v[4:5]
	v_add_f64 v[42:43], v[190:191], -v[6:7]
	v_add_f64 v[0:1], v[12:13], v[0:1]
	v_add_f64 v[2:3], v[14:15], v[2:3]
	v_mul_f64 v[222:223], v[36:37], s[22:23]
	v_mul_f64 v[220:221], v[38:39], s[16:17]
	s_delay_alu instid0(VALU_DEP_4) | instskip(NEXT) | instid1(VALU_DEP_4)
	v_add_f64 v[4:5], v[0:1], v[4:5]
	v_add_f64 v[6:7], v[2:3], v[6:7]
	ds_load_b128 v[0:3], v255 offset:26400
	s_waitcnt lgkmcnt(0)
	s_barrier
	buffer_gl0_inv
	v_add_f64 v[12:13], v[186:187], -v[2:3]
	v_add_f64 v[14:15], v[184:185], v[0:1]
	v_add_f64 v[18:19], v[184:185], -v[0:1]
	v_add_f64 v[16:17], v[186:187], v[2:3]
	v_add_f64 v[184:185], v[4:5], v[0:1]
	v_add_f64 v[186:187], v[6:7], v[2:3]
	v_mul_f64 v[4:5], v[12:13], s[16:17]
	v_mul_f64 v[0:1], v[12:13], s[26:27]
	;; [unrolled: 1-line block ×7, first 2 shown]
	v_fma_f64 v[26:27], v[14:15], s[22:23], v[4:5]
	v_fma_f64 v[4:5], v[14:15], s[22:23], -v[4:5]
	v_fma_f64 v[20:21], v[14:15], s[24:25], v[0:1]
	v_fma_f64 v[0:1], v[14:15], s[24:25], -v[0:1]
	v_fma_f64 v[22:23], v[14:15], s[20:21], v[2:3]
	v_fma_f64 v[24:25], v[14:15], s[20:21], -v[2:3]
	v_fma_f64 v[28:29], v[14:15], s[18:19], v[6:7]
	v_fma_f64 v[6:7], v[14:15], s[18:19], -v[6:7]
	v_fma_f64 v[30:31], v[14:15], s[12:13], v[12:13]
	v_fma_f64 v[12:13], v[14:15], s[12:13], -v[12:13]
	v_mul_f64 v[2:3], v[16:17], s[24:25]
	v_mul_f64 v[14:15], v[16:17], s[20:21]
	;; [unrolled: 1-line block ×3, first 2 shown]
	v_fma_f64 v[148:149], v[18:19], s[28:29], v[140:141]
	v_fma_f64 v[140:141], v[18:19], s[16:17], v[140:141]
	;; [unrolled: 1-line block ×4, first 2 shown]
	v_add_f64 v[26:27], v[180:181], v[26:27]
	v_add_f64 v[208:209], v[180:181], v[4:5]
	v_mul_f64 v[4:5], v[42:43], s[14:15]
	v_add_f64 v[0:1], v[180:181], v[0:1]
	v_add_f64 v[22:23], v[180:181], v[22:23]
	v_add_f64 v[24:25], v[180:181], v[24:25]
	v_add_f64 v[28:29], v[180:181], v[28:29]
	v_add_f64 v[210:211], v[180:181], v[6:7]
	v_add_f64 v[212:213], v[180:181], v[30:31]
	v_add_f64 v[216:217], v[180:181], v[12:13]
	v_fma_f64 v[144:145], v[18:19], s[30:31], v[2:3]
	v_fma_f64 v[2:3], v[18:19], s[26:27], v[2:3]
	;; [unrolled: 1-line block ×6, first 2 shown]
	v_add_f64 v[18:19], v[180:181], v[20:21]
	v_add_f64 v[148:149], v[182:183], v[148:149]
	;; [unrolled: 1-line block ×5, first 2 shown]
	v_fma_f64 v[6:7], v[194:195], s[20:21], v[4:5]
	v_fma_f64 v[4:5], v[194:195], s[20:21], -v[4:5]
	v_add_f64 v[20:21], v[182:183], v[144:145]
	v_add_f64 v[2:3], v[182:183], v[2:3]
	;; [unrolled: 1-line block ×6, first 2 shown]
	v_fma_f64 v[16:17], v[198:199], s[22:23], v[220:221]
	v_add_f64 v[12:13], v[6:7], v[18:19]
	v_mul_f64 v[6:7], v[40:41], s[20:21]
	v_mul_f64 v[18:19], v[40:41], s[18:19]
	v_add_f64 v[0:1], v[4:5], v[0:1]
	v_fma_f64 v[4:5], v[204:205], s[18:19], -v[225:226]
	v_add_f64 v[12:13], v[16:17], v[12:13]
	v_fma_f64 v[14:15], v[206:207], s[34:35], v[6:7]
	v_fma_f64 v[16:17], v[192:193], s[28:29], v[222:223]
	;; [unrolled: 1-line block ×3, first 2 shown]
	s_delay_alu instid0(VALU_DEP_3) | instskip(SKIP_1) | instid1(VALU_DEP_3)
	v_add_f64 v[14:15], v[14:15], v[20:21]
	v_mul_f64 v[20:21], v[38:39], s[36:37]
	v_add_f64 v[2:3], v[6:7], v[2:3]
	v_fma_f64 v[6:7], v[196:197], s[10:11], v[227:228]
	s_delay_alu instid0(VALU_DEP_4) | instskip(SKIP_1) | instid1(VALU_DEP_1)
	v_add_f64 v[14:15], v[16:17], v[14:15]
	v_fma_f64 v[16:17], v[204:205], s[18:19], v[225:226]
	v_add_f64 v[12:13], v[16:17], v[12:13]
	v_fma_f64 v[16:17], v[196:197], s[38:39], v[227:228]
	s_delay_alu instid0(VALU_DEP_1) | instskip(SKIP_1) | instid1(VALU_DEP_1)
	v_add_f64 v[14:15], v[16:17], v[14:15]
	v_fma_f64 v[16:17], v[200:201], s[12:13], v[229:230]
	v_add_f64 v[188:189], v[16:17], v[12:13]
	v_fma_f64 v[12:13], v[202:203], s[36:37], v[231:232]
	v_mul_f64 v[16:17], v[42:43], s[10:11]
	s_delay_alu instid0(VALU_DEP_2) | instskip(NEXT) | instid1(VALU_DEP_2)
	v_add_f64 v[190:191], v[12:13], v[14:15]
	v_fma_f64 v[12:13], v[194:195], s[18:19], v[16:17]
	v_fma_f64 v[14:15], v[206:207], s[38:39], v[18:19]
	v_fma_f64 v[16:17], v[194:195], s[18:19], -v[16:17]
	v_fma_f64 v[18:19], v[206:207], s[10:11], v[18:19]
	s_delay_alu instid0(VALU_DEP_4)
	v_add_f64 v[12:13], v[12:13], v[22:23]
	v_fma_f64 v[22:23], v[198:199], s[12:13], v[20:21]
	v_add_f64 v[14:15], v[14:15], v[144:145]
	v_add_f64 v[16:17], v[16:17], v[24:25]
	v_fma_f64 v[20:21], v[198:199], s[12:13], -v[20:21]
	v_add_f64 v[18:19], v[18:19], v[146:147]
	v_mul_f64 v[24:25], v[38:39], s[34:35]
	v_add_f64 v[12:13], v[22:23], v[12:13]
	v_mul_f64 v[22:23], v[36:37], s[12:13]
	v_add_f64 v[16:17], v[20:21], v[16:17]
	s_delay_alu instid0(VALU_DEP_2) | instskip(SKIP_1) | instid1(VALU_DEP_2)
	v_fma_f64 v[30:31], v[192:193], s[8:9], v[22:23]
	v_fma_f64 v[20:21], v[192:193], s[36:37], v[22:23]
	v_add_f64 v[14:15], v[30:31], v[14:15]
	v_mul_f64 v[30:31], v[10:11], s[28:29]
	s_delay_alu instid0(VALU_DEP_3) | instskip(NEXT) | instid1(VALU_DEP_2)
	v_add_f64 v[18:19], v[20:21], v[18:19]
	v_fma_f64 v[144:145], v[204:205], s[22:23], v[30:31]
	v_fma_f64 v[20:21], v[204:205], s[22:23], -v[30:31]
	s_delay_alu instid0(VALU_DEP_2) | instskip(SKIP_1) | instid1(VALU_DEP_3)
	v_add_f64 v[12:13], v[144:145], v[12:13]
	v_mul_f64 v[144:145], v[8:9], s[22:23]
	v_add_f64 v[16:17], v[20:21], v[16:17]
	s_delay_alu instid0(VALU_DEP_2) | instskip(SKIP_1) | instid1(VALU_DEP_2)
	v_fma_f64 v[180:181], v[196:197], s[16:17], v[144:145]
	v_fma_f64 v[20:21], v[196:197], s[28:29], v[144:145]
	v_add_f64 v[14:15], v[180:181], v[14:15]
	v_mul_f64 v[180:181], v[34:35], s[30:31]
	s_delay_alu instid0(VALU_DEP_3) | instskip(NEXT) | instid1(VALU_DEP_2)
	v_add_f64 v[18:19], v[20:21], v[18:19]
	v_fma_f64 v[182:183], v[200:201], s[24:25], v[180:181]
	v_fma_f64 v[20:21], v[200:201], s[24:25], -v[180:181]
	s_delay_alu instid0(VALU_DEP_2) | instskip(SKIP_1) | instid1(VALU_DEP_3)
	v_add_f64 v[12:13], v[182:183], v[12:13]
	v_mul_f64 v[182:183], v[32:33], s[24:25]
	v_add_f64 v[180:181], v[20:21], v[16:17]
	v_mul_f64 v[20:21], v[42:43], s[36:37]
	s_delay_alu instid0(VALU_DEP_3) | instskip(SKIP_1) | instid1(VALU_DEP_3)
	v_fma_f64 v[22:23], v[202:203], s[30:31], v[182:183]
	v_fma_f64 v[233:234], v[202:203], s[26:27], v[182:183]
	;; [unrolled: 1-line block ×3, first 2 shown]
	v_fma_f64 v[20:21], v[194:195], s[12:13], -v[20:21]
	s_delay_alu instid0(VALU_DEP_4) | instskip(SKIP_1) | instid1(VALU_DEP_4)
	v_add_f64 v[182:183], v[22:23], v[18:19]
	v_mul_f64 v[22:23], v[40:41], s[12:13]
	v_add_f64 v[16:17], v[16:17], v[26:27]
	v_fma_f64 v[26:27], v[198:199], s[20:21], v[24:25]
	v_add_f64 v[20:21], v[20:21], v[208:209]
	v_fma_f64 v[24:25], v[198:199], s[20:21], -v[24:25]
	v_add_f64 v[14:15], v[233:234], v[14:15]
	v_fma_f64 v[18:19], v[206:207], s[8:9], v[22:23]
	v_fma_f64 v[22:23], v[206:207], s[36:37], v[22:23]
	v_add_f64 v[16:17], v[26:27], v[16:17]
	v_mul_f64 v[26:27], v[36:37], s[20:21]
	v_add_f64 v[20:21], v[24:25], v[20:21]
	v_add_f64 v[18:19], v[18:19], v[148:149]
	v_add_f64 v[22:23], v[22:23], v[140:141]
	v_mul_f64 v[140:141], v[38:39], s[26:27]
	v_fma_f64 v[30:31], v[192:193], s[14:15], v[26:27]
	v_fma_f64 v[24:25], v[192:193], s[34:35], v[26:27]
	v_mul_f64 v[38:39], v[38:39], s[10:11]
	s_delay_alu instid0(VALU_DEP_3) | instskip(SKIP_1) | instid1(VALU_DEP_4)
	v_add_f64 v[18:19], v[30:31], v[18:19]
	v_mul_f64 v[30:31], v[10:11], s[26:27]
	v_add_f64 v[22:23], v[24:25], v[22:23]
	s_delay_alu instid0(VALU_DEP_2) | instskip(SKIP_3) | instid1(VALU_DEP_4)
	v_fma_f64 v[144:145], v[204:205], s[24:25], v[30:31]
	v_fma_f64 v[24:25], v[204:205], s[24:25], -v[30:31]
	v_mul_f64 v[30:31], v[42:43], s[28:29]
	v_mul_f64 v[42:43], v[42:43], s[30:31]
	v_add_f64 v[16:17], v[144:145], v[16:17]
	v_mul_f64 v[144:145], v[8:9], s[24:25]
	v_add_f64 v[20:21], v[24:25], v[20:21]
	s_delay_alu instid0(VALU_DEP_2) | instskip(SKIP_3) | instid1(VALU_DEP_4)
	v_fma_f64 v[146:147], v[196:197], s[30:31], v[144:145]
	v_fma_f64 v[24:25], v[196:197], s[26:27], v[144:145]
	;; [unrolled: 1-line block ×3, first 2 shown]
	v_fma_f64 v[140:141], v[198:199], s[24:25], -v[140:141]
	v_add_f64 v[18:19], v[146:147], v[18:19]
	v_mul_f64 v[146:147], v[34:35], s[10:11]
	v_add_f64 v[22:23], v[24:25], v[22:23]
	s_delay_alu instid0(VALU_DEP_2) | instskip(SKIP_1) | instid1(VALU_DEP_2)
	v_fma_f64 v[148:149], v[200:201], s[18:19], v[146:147]
	v_fma_f64 v[24:25], v[200:201], s[18:19], -v[146:147]
	v_add_f64 v[16:17], v[148:149], v[16:17]
	v_mul_f64 v[148:149], v[32:33], s[18:19]
	s_delay_alu instid0(VALU_DEP_3) | instskip(SKIP_2) | instid1(VALU_DEP_4)
	v_add_f64 v[20:21], v[24:25], v[20:21]
	v_fma_f64 v[24:25], v[194:195], s[22:23], v[30:31]
	v_fma_f64 v[30:31], v[194:195], s[22:23], -v[30:31]
	v_fma_f64 v[26:27], v[202:203], s[10:11], v[148:149]
	v_fma_f64 v[233:234], v[202:203], s[38:39], v[148:149]
	s_delay_alu instid0(VALU_DEP_4)
	v_add_f64 v[24:25], v[24:25], v[28:29]
	v_mul_f64 v[28:29], v[40:41], s[22:23]
	v_add_f64 v[30:31], v[30:31], v[210:211]
	v_mul_f64 v[40:41], v[40:41], s[24:25]
	v_add_f64 v[22:23], v[26:27], v[22:23]
	v_add_f64 v[18:19], v[233:234], v[18:19]
	;; [unrolled: 1-line block ×3, first 2 shown]
	v_fma_f64 v[26:27], v[206:207], s[16:17], v[28:29]
	v_mul_f64 v[144:145], v[36:37], s[24:25]
	v_fma_f64 v[28:29], v[206:207], s[28:29], v[28:29]
	v_add_f64 v[30:31], v[140:141], v[30:31]
	v_mul_f64 v[36:37], v[36:37], s[18:19]
	v_add_f64 v[26:27], v[26:27], v[150:151]
	v_fma_f64 v[146:147], v[192:193], s[30:31], v[144:145]
	v_add_f64 v[28:29], v[28:29], v[142:143]
	v_fma_f64 v[140:141], v[192:193], s[26:27], v[144:145]
	v_fma_f64 v[144:145], v[198:199], s[18:19], v[38:39]
	v_fma_f64 v[38:39], v[198:199], s[18:19], -v[38:39]
	v_add_f64 v[26:27], v[146:147], v[26:27]
	v_mul_f64 v[146:147], v[10:11], s[8:9]
	v_add_f64 v[28:29], v[140:141], v[28:29]
	v_mul_f64 v[10:11], v[10:11], s[34:35]
	s_delay_alu instid0(VALU_DEP_3) | instskip(SKIP_1) | instid1(VALU_DEP_2)
	v_fma_f64 v[148:149], v[204:205], s[12:13], v[146:147]
	v_fma_f64 v[140:141], v[204:205], s[12:13], -v[146:147]
	v_add_f64 v[24:25], v[148:149], v[24:25]
	v_mul_f64 v[148:149], v[8:9], s[12:13]
	s_delay_alu instid0(VALU_DEP_3) | instskip(SKIP_1) | instid1(VALU_DEP_3)
	v_add_f64 v[30:31], v[140:141], v[30:31]
	v_mul_f64 v[8:9], v[8:9], s[20:21]
	v_fma_f64 v[150:151], v[196:197], s[36:37], v[148:149]
	v_fma_f64 v[140:141], v[196:197], s[8:9], v[148:149]
	s_delay_alu instid0(VALU_DEP_2) | instskip(SKIP_1) | instid1(VALU_DEP_3)
	v_add_f64 v[26:27], v[150:151], v[26:27]
	v_mul_f64 v[150:151], v[34:35], s[34:35]
	v_add_f64 v[140:141], v[140:141], v[28:29]
	v_mul_f64 v[34:35], v[34:35], s[16:17]
	s_delay_alu instid0(VALU_DEP_3) | instskip(SKIP_1) | instid1(VALU_DEP_2)
	v_fma_f64 v[208:209], v[200:201], s[20:21], v[150:151]
	v_fma_f64 v[28:29], v[200:201], s[20:21], -v[150:151]
	v_add_f64 v[24:25], v[208:209], v[24:25]
	v_mul_f64 v[208:209], v[32:33], s[20:21]
	s_delay_alu instid0(VALU_DEP_3) | instskip(SKIP_1) | instid1(VALU_DEP_3)
	v_add_f64 v[28:29], v[28:29], v[30:31]
	v_mul_f64 v[32:33], v[32:33], s[22:23]
	v_fma_f64 v[142:143], v[202:203], s[34:35], v[208:209]
	v_fma_f64 v[233:234], v[202:203], s[14:15], v[208:209]
	s_delay_alu instid0(VALU_DEP_2)
	v_add_f64 v[30:31], v[142:143], v[140:141]
	v_fma_f64 v[140:141], v[194:195], s[24:25], v[42:43]
	v_fma_f64 v[142:143], v[206:207], s[26:27], v[40:41]
	v_fma_f64 v[42:43], v[194:195], s[24:25], -v[42:43]
	v_fma_f64 v[40:41], v[206:207], s[30:31], v[40:41]
	v_add_f64 v[26:27], v[233:234], v[26:27]
	v_add_f64 v[140:141], v[140:141], v[212:213]
	;; [unrolled: 1-line block ×5, first 2 shown]
	s_delay_alu instid0(VALU_DEP_4) | instskip(SKIP_3) | instid1(VALU_DEP_3)
	v_add_f64 v[140:141], v[144:145], v[140:141]
	v_fma_f64 v[144:145], v[192:193], s[38:39], v[36:37]
	v_fma_f64 v[36:37], v[192:193], s[10:11], v[36:37]
	v_add_f64 v[38:39], v[38:39], v[42:43]
	v_add_f64 v[142:143], v[144:145], v[142:143]
	v_fma_f64 v[144:145], v[204:205], s[20:21], v[10:11]
	s_delay_alu instid0(VALU_DEP_4) | instskip(SKIP_1) | instid1(VALU_DEP_3)
	v_add_f64 v[36:37], v[36:37], v[40:41]
	v_fma_f64 v[10:11], v[204:205], s[20:21], -v[10:11]
	v_add_f64 v[140:141], v[144:145], v[140:141]
	v_fma_f64 v[144:145], v[196:197], s[14:15], v[8:9]
	v_fma_f64 v[8:9], v[196:197], s[34:35], v[8:9]
	s_delay_alu instid0(VALU_DEP_4) | instskip(NEXT) | instid1(VALU_DEP_3)
	v_add_f64 v[10:11], v[10:11], v[38:39]
	v_add_f64 v[142:143], v[144:145], v[142:143]
	v_fma_f64 v[144:145], v[200:201], s[22:23], v[34:35]
	s_delay_alu instid0(VALU_DEP_4) | instskip(SKIP_1) | instid1(VALU_DEP_3)
	v_add_f64 v[8:9], v[8:9], v[36:37]
	v_fma_f64 v[34:35], v[200:201], s[22:23], -v[34:35]
	v_add_f64 v[208:209], v[144:145], v[140:141]
	v_fma_f64 v[140:141], v[202:203], s[28:29], v[32:33]
	v_fma_f64 v[32:33], v[202:203], s[16:17], v[32:33]
	s_delay_alu instid0(VALU_DEP_4) | instskip(SKIP_1) | instid1(VALU_DEP_4)
	v_add_f64 v[212:213], v[34:35], v[10:11]
	v_fma_f64 v[10:11], v[192:193], s[16:17], v[222:223]
	v_add_f64 v[210:211], v[140:141], v[142:143]
	s_delay_alu instid0(VALU_DEP_4) | instskip(SKIP_1) | instid1(VALU_DEP_4)
	v_add_f64 v[214:215], v[32:33], v[8:9]
	v_fma_f64 v[8:9], v[198:199], s[22:23], -v[220:221]
	v_add_f64 v[2:3], v[10:11], v[2:3]
	v_fma_f64 v[10:11], v[202:203], s[8:9], v[231:232]
	s_delay_alu instid0(VALU_DEP_3) | instskip(SKIP_1) | instid1(VALU_DEP_4)
	v_add_f64 v[0:1], v[8:9], v[0:1]
	v_fma_f64 v[8:9], v[200:201], s[12:13], -v[229:230]
	v_add_f64 v[2:3], v[6:7], v[2:3]
	s_delay_alu instid0(VALU_DEP_3) | instskip(NEXT) | instid1(VALU_DEP_2)
	v_add_f64 v[0:1], v[4:5], v[0:1]
	v_add_f64 v[198:199], v[10:11], v[2:3]
	s_delay_alu instid0(VALU_DEP_2)
	v_add_f64 v[196:197], v[8:9], v[0:1]
	ds_store_b128 v224, v[12:15] offset:32
	ds_store_b128 v224, v[16:19] offset:48
	;; [unrolled: 1-line block ×7, first 2 shown]
	ds_store_b128 v224, v[184:187]
	ds_store_b128 v224, v[20:23] offset:128
	ds_store_b128 v224, v[180:183] offset:144
	;; [unrolled: 1-line block ×3, first 2 shown]
	s_waitcnt lgkmcnt(0)
	s_barrier
	buffer_gl0_inv
	ds_load_b128 v[184:187], v255
	ds_load_b128 v[188:191], v255 offset:2640
	ds_load_b128 v[200:203], v255 offset:19360
	ds_load_b128 v[204:207], v255 offset:22000
	ds_load_b128 v[220:223], v255 offset:9680
	ds_load_b128 v[192:195], v255 offset:5280
	ds_load_b128 v[216:219], v255 offset:12320
	ds_load_b128 v[208:211], v255 offset:14960
	ds_load_b128 v[212:215], v255 offset:24640
	s_and_saveexec_b32 s1, s0
	s_cbranch_execz .LBB0_11
; %bb.10:
	ds_load_b128 v[180:183], v255 offset:7920
	ds_load_b128 v[196:199], v255 offset:17600
	;; [unrolled: 1-line block ×3, first 2 shown]
.LBB0_11:
	s_or_b32 exec_lo, exec_lo, s1
	s_waitcnt lgkmcnt(2)
	v_mul_f64 v[12:13], v[62:63], v[216:217]
	v_mul_f64 v[14:15], v[74:75], v[204:205]
	;; [unrolled: 1-line block ×6, first 2 shown]
	s_waitcnt lgkmcnt(1)
	v_mul_f64 v[16:17], v[70:71], v[210:211]
	v_mul_f64 v[20:21], v[70:71], v[208:209]
	s_waitcnt lgkmcnt(0)
	v_mul_f64 v[26:27], v[78:79], v[178:179]
	v_mul_f64 v[6:7], v[86:87], v[200:201]
	;; [unrolled: 1-line block ×7, first 2 shown]
	s_mov_b32 s8, 0xe8584caa
	s_mov_b32 s9, 0xbfebb67a
	;; [unrolled: 1-line block ×4, first 2 shown]
	s_barrier
	buffer_gl0_inv
	v_mul_f64 v[28:29], v[82:83], v[196:197]
	v_fma_f64 v[12:13], v[60:61], v[218:219], -v[12:13]
	v_fma_f64 v[40:41], v[72:73], v[206:207], -v[14:15]
	v_fma_f64 v[32:33], v[88:89], v[220:221], v[0:1]
	v_fma_f64 v[34:35], v[84:85], v[200:201], v[2:3]
	v_fma_f64 v[8:9], v[60:61], v[216:217], v[8:9]
	v_fma_f64 v[10:11], v[72:73], v[204:205], v[10:11]
	v_fma_f64 v[14:15], v[68:69], v[208:209], v[16:17]
	v_fma_f64 v[16:17], v[68:69], v[210:211], -v[20:21]
	v_fma_f64 v[0:1], v[76:77], v[176:177], v[26:27]
	v_fma_f64 v[38:39], v[84:85], v[202:203], -v[6:7]
	v_fma_f64 v[42:43], v[64:65], v[212:213], v[18:19]
	;; [unrolled: 2-line block ×3, first 2 shown]
	v_fma_f64 v[36:37], v[88:89], v[222:223], -v[4:5]
	v_fma_f64 v[4:5], v[76:77], v[178:179], -v[30:31]
	;; [unrolled: 1-line block ×3, first 2 shown]
	v_add_f64 v[70:71], v[190:191], v[12:13]
	v_add_f64 v[26:27], v[12:13], v[40:41]
	;; [unrolled: 1-line block ×6, first 2 shown]
	v_add_f64 v[8:9], v[8:9], -v[10:11]
	v_add_f64 v[74:75], v[194:195], v[16:17]
	v_add_f64 v[32:33], v[32:33], -v[34:35]
	v_add_f64 v[72:73], v[192:193], v[14:15]
	v_add_f64 v[28:29], v[14:15], v[42:43]
	;; [unrolled: 1-line block ×3, first 2 shown]
	v_add_f64 v[86:87], v[16:17], -v[22:23]
	v_add_f64 v[20:21], v[36:37], v[38:39]
	v_add_f64 v[66:67], v[36:37], -v[38:39]
	v_add_f64 v[36:37], v[186:187], v[36:37]
	v_add_f64 v[80:81], v[12:13], -v[40:41]
	v_add_f64 v[90:91], v[14:15], -v[42:43]
	v_add_f64 v[60:61], v[2:3], v[0:1]
	v_add_f64 v[146:147], v[2:3], -v[0:1]
	v_add_f64 v[62:63], v[6:7], v[4:5]
	v_add_f64 v[142:143], v[6:7], -v[4:5]
	v_fma_f64 v[84:85], v[26:27], -0.5, v[190:191]
	v_add_f64 v[12:13], v[64:65], v[34:35]
	v_fma_f64 v[76:77], v[18:19], -0.5, v[184:185]
	v_add_f64 v[18:19], v[70:71], v[40:41]
	;; [unrolled: 2-line block ×3, first 2 shown]
	v_add_f64 v[22:23], v[74:75], v[22:23]
	v_fma_f64 v[88:89], v[28:29], -0.5, v[192:193]
	v_fma_f64 v[140:141], v[30:31], -0.5, v[194:195]
	;; [unrolled: 1-line block ×3, first 2 shown]
	v_add_f64 v[20:21], v[72:73], v[42:43]
	v_add_f64 v[14:15], v[36:37], v[38:39]
	v_fma_f64 v[144:145], v[60:61], -0.5, v[180:181]
	v_fma_f64 v[148:149], v[62:63], -0.5, v[182:183]
	v_fma_f64 v[70:71], v[8:9], s[10:11], v[84:85]
	v_fma_f64 v[74:75], v[8:9], s[8:9], v[84:85]
	scratch_load_b32 v8, off, off offset:252 ; 4-byte Folded Reload
	v_fma_f64 v[24:25], v[66:67], s[8:9], v[76:77]
	v_fma_f64 v[28:29], v[66:67], s[10:11], v[76:77]
	v_fma_f64 v[68:69], v[80:81], s[8:9], v[82:83]
	v_fma_f64 v[72:73], v[80:81], s[10:11], v[82:83]
	v_fma_f64 v[76:77], v[86:87], s[8:9], v[88:89]
	v_fma_f64 v[80:81], v[86:87], s[10:11], v[88:89]
	v_fma_f64 v[82:83], v[90:91], s[8:9], v[140:141]
	v_fma_f64 v[26:27], v[32:33], s[10:11], v[78:79]
	v_fma_f64 v[30:31], v[32:33], s[8:9], v[78:79]
	v_fma_f64 v[78:79], v[90:91], s[10:11], v[140:141]
	s_waitcnt vmcnt(0)
	ds_store_b128 v8, v[12:15]
	ds_store_b128 v8, v[24:27] offset:176
	ds_store_b128 v8, v[28:31] offset:352
	scratch_load_b32 v8, off, off offset:248 ; 4-byte Folded Reload
	v_fma_f64 v[60:61], v[142:143], s[8:9], v[144:145]
	v_fma_f64 v[64:65], v[142:143], s[10:11], v[144:145]
	;; [unrolled: 1-line block ×4, first 2 shown]
	s_waitcnt vmcnt(0)
	ds_store_b128 v8, v[16:19]
	ds_store_b128 v8, v[68:71] offset:176
	ds_store_b128 v8, v[72:75] offset:352
	scratch_load_b32 v8, off, off offset:244 ; 4-byte Folded Reload
	s_waitcnt vmcnt(0)
	ds_store_b128 v8, v[20:23]
	ds_store_b128 v8, v[76:79] offset:176
	ds_store_b128 v8, v[80:83] offset:352
	s_and_saveexec_b32 s1, s0
	s_cbranch_execz .LBB0_13
; %bb.12:
	v_add_f64 v[6:7], v[182:183], v[6:7]
	v_add_f64 v[8:9], v[180:181], v[2:3]
	s_delay_alu instid0(VALU_DEP_2)
	v_add_f64 v[2:3], v[6:7], v[4:5]
	s_clause 0x1
	scratch_load_b32 v4, off, off offset:236
	scratch_load_b32 v5, off, off offset:240
	v_add_f64 v[0:1], v[8:9], v[0:1]
	s_waitcnt vmcnt(0)
	v_mad_u16 v4, v4, 33, v5
	s_delay_alu instid0(VALU_DEP_1) | instskip(NEXT) | instid1(VALU_DEP_1)
	v_and_b32_e32 v4, 0xffff, v4
	v_lshlrev_b32_e32 v4, 4, v4
	ds_store_b128 v4, v[0:3]
	ds_store_b128 v4, v[60:63] offset:176
	ds_store_b128 v4, v[64:67] offset:352
.LBB0_13:
	s_or_b32 exec_lo, exec_lo, s1
	s_waitcnt lgkmcnt(0)
	s_barrier
	buffer_gl0_inv
	ds_load_b128 v[72:75], v255
	ds_load_b128 v[68:71], v255 offset:2640
	ds_load_b128 v[176:179], v255 offset:5808
	;; [unrolled: 1-line block ×9, first 2 shown]
	s_and_saveexec_b32 s0, vcc_lo
	s_cbranch_execz .LBB0_15
; %bb.14:
	ds_load_b128 v[60:63], v255 offset:5280
	ds_load_b128 v[64:67], v255 offset:11088
	;; [unrolled: 1-line block ×3, first 2 shown]
	s_waitcnt lgkmcnt(0)
	scratch_store_b128 off, v[0:3], off offset:16 ; 16-byte Folded Spill
	ds_load_b128 v[0:3], v255 offset:22704
	s_waitcnt lgkmcnt(0)
	scratch_store_b128 off, v[0:3], off offset:32 ; 16-byte Folded Spill
	ds_load_b128 v[0:3], v255 offset:28512
	s_waitcnt lgkmcnt(0)
	scratch_store_b128 off, v[0:3], off     ; 16-byte Folded Spill
.LBB0_15:
	s_or_b32 exec_lo, exec_lo, s0
	s_waitcnt lgkmcnt(7)
	v_mul_f64 v[0:1], v[98:99], v[178:179]
	s_waitcnt lgkmcnt(5)
	v_mul_f64 v[2:3], v[94:95], v[182:183]
	;; [unrolled: 2-line block ×4, first 2 shown]
	v_mul_f64 v[22:23], v[114:115], v[76:77]
	v_mul_f64 v[26:27], v[110:111], v[80:81]
	v_mul_f64 v[28:29], v[118:119], v[84:85]
	s_waitcnt lgkmcnt(0)
	v_mul_f64 v[30:31], v[122:123], v[88:89]
	v_mul_f64 v[16:17], v[114:115], v[78:79]
	;; [unrolled: 1-line block ×7, first 2 shown]
	s_waitcnt_vscnt null, 0x0
	s_barrier
	buffer_gl0_inv
	v_mul_f64 v[14:15], v[106:107], v[188:189]
	v_mul_f64 v[20:21], v[118:119], v[86:87]
	s_mov_b32 s0, 0x134454ff
	s_mov_b32 s1, 0xbfee6f0e
	;; [unrolled: 1-line block ×10, first 2 shown]
	v_fma_f64 v[0:1], v[96:97], v[176:177], v[0:1]
	v_fma_f64 v[2:3], v[92:93], v[180:181], v[2:3]
	;; [unrolled: 1-line block ×4, first 2 shown]
	v_fma_f64 v[22:23], v[112:113], v[78:79], -v[22:23]
	v_fma_f64 v[26:27], v[108:109], v[82:83], -v[26:27]
	;; [unrolled: 1-line block ×4, first 2 shown]
	v_fma_f64 v[16:17], v[112:113], v[76:77], v[16:17]
	v_fma_f64 v[18:19], v[108:109], v[80:81], v[18:19]
	v_fma_f64 v[10:11], v[92:93], v[182:183], -v[10:11]
	v_fma_f64 v[12:13], v[100:101], v[186:187], -v[12:13]
	;; [unrolled: 1-line block ×3, first 2 shown]
	v_fma_f64 v[24:25], v[120:121], v[88:89], v[24:25]
	v_fma_f64 v[14:15], v[104:105], v[190:191], -v[14:15]
	v_fma_f64 v[20:21], v[116:117], v[84:85], v[20:21]
	v_add_f64 v[80:81], v[72:73], v[0:1]
	v_add_f64 v[32:33], v[2:3], v[4:5]
	;; [unrolled: 1-line block ×4, first 2 shown]
	v_add_f64 v[92:93], v[0:1], -v[8:9]
	v_add_f64 v[76:77], v[26:27], v[28:29]
	v_add_f64 v[78:79], v[22:23], v[30:31]
	v_add_f64 v[98:99], v[8:9], -v[4:5]
	v_add_f64 v[100:101], v[4:5], -v[8:9]
	v_add_f64 v[88:89], v[68:69], v[16:17]
	v_add_f64 v[36:37], v[10:11], v[12:13]
	;; [unrolled: 1-line block ×4, first 2 shown]
	v_add_f64 v[84:85], v[10:11], -v[12:13]
	v_add_f64 v[102:103], v[6:7], -v[10:11]
	;; [unrolled: 1-line block ×3, first 2 shown]
	v_add_f64 v[38:39], v[6:7], v[14:15]
	v_add_f64 v[40:41], v[18:19], v[20:21]
	v_add_f64 v[82:83], v[6:7], -v[14:15]
	v_add_f64 v[6:7], v[10:11], -v[6:7]
	;; [unrolled: 1-line block ×13, first 2 shown]
	v_fma_f64 v[32:33], v[32:33], -0.5, v[72:73]
	v_fma_f64 v[34:35], v[34:35], -0.5, v[72:73]
	v_add_f64 v[72:73], v[2:3], -v[4:5]
	v_fma_f64 v[76:77], v[76:77], -0.5, v[70:71]
	v_fma_f64 v[70:71], v[78:79], -0.5, v[70:71]
	v_add_f64 v[78:79], v[0:1], -v[2:3]
	v_add_f64 v[0:1], v[2:3], -v[0:1]
	v_add_f64 v[2:3], v[80:81], v[2:3]
	v_fma_f64 v[36:37], v[36:37], -0.5, v[74:75]
	v_add_f64 v[10:11], v[86:87], v[10:11]
	v_fma_f64 v[42:43], v[42:43], -0.5, v[68:69]
	v_fma_f64 v[38:39], v[38:39], -0.5, v[74:75]
	v_add_f64 v[74:75], v[26:27], -v[28:29]
	v_fma_f64 v[40:41], v[40:41], -0.5, v[68:69]
	v_add_f64 v[68:69], v[18:19], -v[20:21]
	v_add_f64 v[18:19], v[88:89], v[18:19]
	v_add_f64 v[26:27], v[90:91], v[26:27]
	v_fma_f64 v[80:81], v[82:83], s[0:1], v[32:33]
	v_fma_f64 v[32:33], v[82:83], s[8:9], v[32:33]
	;; [unrolled: 1-line block ×6, first 2 shown]
	v_add_f64 v[78:79], v[78:79], v[98:99]
	v_add_f64 v[98:99], v[0:1], v[100:101]
	;; [unrolled: 1-line block ×3, first 2 shown]
	v_fma_f64 v[88:89], v[92:93], s[8:9], v[36:37]
	v_fma_f64 v[36:37], v[92:93], s[0:1], v[36:37]
	v_add_f64 v[2:3], v[10:11], v[12:13]
	v_add_f64 v[100:101], v[102:103], v[104:105]
	;; [unrolled: 1-line block ×4, first 2 shown]
	v_fma_f64 v[90:91], v[72:73], s[0:1], v[38:39]
	v_fma_f64 v[38:39], v[72:73], s[8:9], v[38:39]
	v_add_f64 v[106:107], v[16:17], v[112:113]
	v_add_f64 v[110:111], v[22:23], v[118:119]
	;; [unrolled: 1-line block ×4, first 2 shown]
	v_fma_f64 v[120:121], v[94:95], s[0:1], v[40:41]
	v_fma_f64 v[40:41], v[94:95], s[8:9], v[40:41]
	;; [unrolled: 1-line block ×6, first 2 shown]
	v_add_f64 v[108:109], v[114:115], v[116:117]
	v_fma_f64 v[10:11], v[84:85], s[12:13], v[80:81]
	v_fma_f64 v[16:17], v[84:85], s[10:11], v[32:33]
	v_fma_f64 v[18:19], v[82:83], s[12:13], v[86:87]
	v_fma_f64 v[22:23], v[82:83], s[10:11], v[34:35]
	v_fma_f64 v[82:83], v[68:69], s[12:13], v[76:77]
	v_add_f64 v[0:1], v[0:1], v[8:9]
	scratch_load_b32 v8, off, off offset:264 ; 4-byte Folded Reload
	v_fma_f64 v[26:27], v[72:73], s[10:11], v[88:89]
	v_fma_f64 v[28:29], v[72:73], s[12:13], v[36:37]
	v_add_f64 v[2:3], v[2:3], v[14:15]
	v_fma_f64 v[32:33], v[92:93], s[10:11], v[90:91]
	v_fma_f64 v[34:35], v[92:93], s[12:13], v[38:39]
	v_add_f64 v[4:5], v[4:5], v[24:25]
	v_add_f64 v[6:7], v[6:7], v[30:31]
	v_fma_f64 v[36:37], v[74:75], s[12:13], v[120:121]
	v_fma_f64 v[38:39], v[74:75], s[10:11], v[40:41]
	;; [unrolled: 1-line block ×15, first 2 shown]
	s_waitcnt vmcnt(0)
	ds_store_b128 v8, v[0:3]
	ds_store_b128 v8, v[12:15] offset:528
	ds_store_b128 v8, v[20:23] offset:1056
	;; [unrolled: 1-line block ×4, first 2 shown]
	scratch_load_b32 v0, off, off offset:260 ; 4-byte Folded Reload
	v_fma_f64 v[28:29], v[104:105], s[14:15], v[36:37]
	v_fma_f64 v[30:31], v[108:109], s[14:15], v[74:75]
	;; [unrolled: 1-line block ×8, first 2 shown]
	s_waitcnt vmcnt(0)
	ds_store_b128 v0, v[4:7]
	ds_store_b128 v0, v[28:31] offset:528
	ds_store_b128 v0, v[72:75] offset:1056
	;; [unrolled: 1-line block ×4, first 2 shown]
	s_and_saveexec_b32 s16, vcc_lo
	s_cbranch_execz .LBB0_17
; %bb.16:
	s_clause 0x2
	scratch_load_b128 v[20:23], off, off offset:16
	scratch_load_b128 v[16:19], off, off
	scratch_load_b128 v[24:27], off, off offset:32
	v_mul_f64 v[2:3], v[50:51], v[64:65]
	v_mul_f64 v[12:13], v[50:51], v[66:67]
	s_delay_alu instid0(VALU_DEP_2) | instskip(NEXT) | instid1(VALU_DEP_2)
	v_fma_f64 v[2:3], v[48:49], v[66:67], -v[2:3]
	v_fma_f64 v[12:13], v[48:49], v[64:65], v[12:13]
	s_delay_alu instid0(VALU_DEP_2) | instskip(NEXT) | instid1(VALU_DEP_2)
	v_add_f64 v[28:29], v[62:63], v[2:3]
	v_add_f64 v[30:31], v[60:61], v[12:13]
	s_waitcnt vmcnt(2)
	v_mul_f64 v[0:1], v[46:47], v[20:21]
	s_waitcnt vmcnt(1)
	v_mul_f64 v[4:5], v[58:59], v[16:17]
	;; [unrolled: 2-line block ×3, first 2 shown]
	v_mul_f64 v[8:9], v[46:47], v[22:23]
	v_mul_f64 v[10:11], v[54:55], v[26:27]
	v_mul_f64 v[14:15], v[58:59], v[18:19]
	v_fma_f64 v[0:1], v[44:45], v[22:23], -v[0:1]
	v_fma_f64 v[4:5], v[56:57], v[18:19], -v[4:5]
	;; [unrolled: 1-line block ×3, first 2 shown]
	v_fma_f64 v[8:9], v[44:45], v[20:21], v[8:9]
	v_fma_f64 v[10:11], v[52:53], v[24:25], v[10:11]
	;; [unrolled: 1-line block ×3, first 2 shown]
	v_add_f64 v[36:37], v[0:1], -v[2:3]
	v_add_f64 v[16:17], v[2:3], v[4:5]
	v_add_f64 v[18:19], v[0:1], v[6:7]
	v_add_f64 v[32:33], v[2:3], -v[4:5]
	v_add_f64 v[20:21], v[8:9], v[10:11]
	v_add_f64 v[24:25], v[8:9], -v[10:11]
	v_add_f64 v[26:27], v[12:13], -v[14:15]
	v_add_f64 v[22:23], v[12:13], v[14:15]
	v_add_f64 v[34:35], v[0:1], -v[6:7]
	v_add_f64 v[38:39], v[6:7], -v[4:5]
	;; [unrolled: 1-line block ×7, first 2 shown]
	v_add_f64 v[0:1], v[28:29], v[0:1]
	v_add_f64 v[8:9], v[30:31], v[8:9]
	v_add_f64 v[44:45], v[10:11], -v[14:15]
	v_fma_f64 v[16:17], v[16:17], -0.5, v[62:63]
	v_fma_f64 v[18:19], v[18:19], -0.5, v[62:63]
	;; [unrolled: 1-line block ×4, first 2 shown]
	v_add_f64 v[36:37], v[36:37], v[38:39]
	v_add_f64 v[38:39], v[2:3], v[40:41]
	;; [unrolled: 1-line block ×6, first 2 shown]
	v_fma_f64 v[28:29], v[24:25], s[8:9], v[16:17]
	v_fma_f64 v[16:17], v[24:25], s[0:1], v[16:17]
	;; [unrolled: 1-line block ×8, first 2 shown]
	v_add_f64 v[2:3], v[0:1], v[4:5]
	v_add_f64 v[0:1], v[6:7], v[14:15]
	v_fma_f64 v[8:9], v[26:27], s[12:13], v[28:29]
	v_fma_f64 v[10:11], v[26:27], s[10:11], v[16:17]
	;; [unrolled: 1-line block ×14, first 2 shown]
	scratch_load_b32 v20, off, off offset:256 ; 4-byte Folded Reload
	v_fma_f64 v[8:9], v[40:41], s[14:15], v[26:27]
	v_fma_f64 v[4:5], v[40:41], s[14:15], v[22:23]
	s_waitcnt vmcnt(0)
	v_lshlrev_b32_e32 v20, 4, v20
	ds_store_b128 v20, v[0:3] offset:26400
	ds_store_b128 v20, v[16:19] offset:26928
	;; [unrolled: 1-line block ×5, first 2 shown]
.LBB0_17:
	s_or_b32 exec_lo, exec_lo, s16
	s_waitcnt lgkmcnt(0)
	s_barrier
	buffer_gl0_inv
	ds_load_b128 v[0:3], v255 offset:2640
	ds_load_b128 v[4:7], v255 offset:26400
	;; [unrolled: 1-line block ×10, first 2 shown]
	ds_load_b128 v[44:47], v255
	s_mov_b32 s0, 0xf8bb580b
	s_mov_b32 s8, 0x8764f0ba
	;; [unrolled: 1-line block ×13, first 2 shown]
	s_waitcnt lgkmcnt(9)
	v_mul_f64 v[36:37], v[174:175], v[4:5]
	s_waitcnt lgkmcnt(8)
	v_mul_f64 v[38:39], v[134:135], v[8:9]
	v_mul_f64 v[32:33], v[138:139], v[2:3]
	v_mul_f64 v[34:35], v[138:139], v[0:1]
	s_waitcnt lgkmcnt(7)
	v_mul_f64 v[40:41], v[170:171], v[12:13]
	v_mul_f64 v[42:43], v[134:135], v[10:11]
	;; [unrolled: 4-line block ×3, first 2 shown]
	s_waitcnt lgkmcnt(5)
	v_mul_f64 v[68:69], v[166:167], v[22:23]
	s_waitcnt lgkmcnt(4)
	v_mul_f64 v[70:71], v[130:131], v[24:25]
	;; [unrolled: 2-line block ×4, first 2 shown]
	v_mul_f64 v[66:67], v[130:131], v[26:27]
	v_mul_f64 v[72:73], v[162:163], v[58:59]
	;; [unrolled: 1-line block ×5, first 2 shown]
	s_mov_b32 s21, 0xbfc2375f
	s_mov_b32 s27, 0xbfe4f49e
	;; [unrolled: 1-line block ×16, first 2 shown]
	v_fma_f64 v[48:49], v[172:173], v[6:7], -v[36:37]
	v_fma_f64 v[6:7], v[132:133], v[10:11], -v[38:39]
	v_fma_f64 v[32:33], v[136:137], v[0:1], v[32:33]
	v_fma_f64 v[34:35], v[136:137], v[2:3], -v[34:35]
	v_mul_f64 v[0:1], v[126:127], v[16:17]
	v_mul_f64 v[2:3], v[166:167], v[20:21]
	v_fma_f64 v[50:51], v[168:169], v[14:15], -v[40:41]
	v_fma_f64 v[8:9], v[132:133], v[8:9], v[42:43]
	v_fma_f64 v[52:53], v[172:173], v[4:5], v[52:53]
	;; [unrolled: 1-line block ×3, first 2 shown]
	v_fma_f64 v[16:17], v[128:129], v[26:27], -v[70:71]
	v_fma_f64 v[26:27], v[156:157], v[30:31], -v[78:79]
	;; [unrolled: 1-line block ×3, first 2 shown]
	v_fma_f64 v[54:55], v[168:169], v[12:13], v[64:65]
	v_fma_f64 v[12:13], v[128:129], v[24:25], v[66:67]
	v_fma_f64 v[24:25], v[156:157], v[28:29], v[76:77]
	v_fma_f64 v[28:29], v[152:153], v[60:61], v[80:81]
	s_waitcnt lgkmcnt(0)
	v_add_f64 v[10:11], v[44:45], v[32:33]
	v_add_f64 v[14:15], v[46:47], v[34:35]
	v_fma_f64 v[18:19], v[124:125], v[18:19], -v[0:1]
	v_fma_f64 v[0:1], v[164:165], v[22:23], -v[2:3]
	v_fma_f64 v[2:3], v[164:165], v[20:21], v[68:69]
	v_add_f64 v[36:37], v[34:35], -v[48:49]
	v_add_f64 v[34:35], v[34:35], v[48:49]
	v_add_f64 v[38:39], v[6:7], -v[50:51]
	v_add_f64 v[40:41], v[6:7], v[50:51]
	v_fma_f64 v[20:21], v[160:161], v[56:57], v[72:73]
	v_fma_f64 v[22:23], v[160:161], v[58:59], -v[74:75]
	v_add_f64 v[56:57], v[32:33], v[52:53]
	v_add_f64 v[32:33], v[32:33], -v[52:53]
	v_add_f64 v[74:75], v[26:27], v[30:31]
	v_add_f64 v[58:59], v[8:9], v[54:55]
	v_add_f64 v[72:73], v[24:25], v[28:29]
	v_add_f64 v[76:77], v[24:25], -v[28:29]
	v_add_f64 v[78:79], v[26:27], -v[30:31]
	v_add_f64 v[10:11], v[10:11], v[8:9]
	v_add_f64 v[6:7], v[14:15], v[6:7]
	v_add_f64 v[8:9], v[8:9], -v[54:55]
	v_add_f64 v[14:15], v[18:19], -v[0:1]
	v_add_f64 v[60:61], v[4:5], v[2:3]
	v_add_f64 v[62:63], v[4:5], -v[2:3]
	v_mul_f64 v[80:81], v[36:37], s[0:1]
	v_mul_f64 v[82:83], v[34:35], s[8:9]
	;; [unrolled: 1-line block ×8, first 2 shown]
	v_add_f64 v[42:43], v[18:19], v[0:1]
	v_add_f64 v[64:65], v[12:13], v[20:21]
	;; [unrolled: 1-line block ×3, first 2 shown]
	v_add_f64 v[68:69], v[16:17], -v[22:23]
	v_add_f64 v[70:71], v[12:13], -v[20:21]
	v_mul_f64 v[92:93], v[36:37], s[24:25]
	v_mul_f64 v[36:37], v[36:37], s[30:31]
	;; [unrolled: 1-line block ×17, first 2 shown]
	v_add_f64 v[4:5], v[10:11], v[4:5]
	v_add_f64 v[6:7], v[6:7], v[18:19]
	v_mul_f64 v[10:11], v[40:41], s[26:27]
	v_mul_f64 v[18:19], v[38:39], s[36:37]
	;; [unrolled: 1-line block ×6, first 2 shown]
	v_fma_f64 v[156:157], v[56:57], s[14:15], v[84:85]
	v_fma_f64 v[158:159], v[32:33], s[16:17], v[86:87]
	;; [unrolled: 1-line block ×9, first 2 shown]
	v_fma_f64 v[88:89], v[56:57], s[20:21], -v[88:89]
	v_mul_f64 v[110:111], v[42:43], s[20:21]
	v_mul_f64 v[114:115], v[42:43], s[34:35]
	v_mul_f64 v[116:117], v[14:15], s[16:17]
	v_mul_f64 v[118:119], v[42:43], s[14:15]
	v_fma_f64 v[84:85], v[56:57], s[14:15], -v[84:85]
	v_fma_f64 v[164:165], v[56:57], s[26:27], v[92:93]
	v_fma_f64 v[92:93], v[56:57], s[26:27], -v[92:93]
	v_fma_f64 v[168:169], v[56:57], s[34:35], v[36:37]
	;; [unrolled: 2-line block ×3, first 2 shown]
	v_fma_f64 v[178:179], v[8:9], s[30:31], v[102:103]
	v_fma_f64 v[102:103], v[8:9], s[36:37], v[102:103]
	;; [unrolled: 1-line block ×3, first 2 shown]
	v_mul_f64 v[120:121], v[14:15], s[0:1]
	v_mul_f64 v[122:123], v[42:43], s[8:9]
	;; [unrolled: 1-line block ×7, first 2 shown]
	v_add_f64 v[4:5], v[4:5], v[12:13]
	v_add_f64 v[6:7], v[6:7], v[16:17]
	v_mul_f64 v[12:13], v[74:75], s[20:21]
	v_fma_f64 v[16:17], v[56:57], s[8:9], v[80:81]
	v_fma_f64 v[74:75], v[32:33], s[10:11], v[82:83]
	v_fma_f64 v[80:81], v[56:57], s[8:9], -v[80:81]
	v_fma_f64 v[82:83], v[32:33], s[0:1], v[82:83]
	v_fma_f64 v[32:33], v[32:33], s[30:31], v[34:35]
	;; [unrolled: 1-line block ×4, first 2 shown]
	v_fma_f64 v[96:97], v[58:59], s[14:15], -v[96:97]
	v_fma_f64 v[98:99], v[8:9], s[12:13], v[98:99]
	v_fma_f64 v[174:175], v[8:9], s[28:29], v[10:11]
	;; [unrolled: 1-line block ×4, first 2 shown]
	v_add_f64 v[156:157], v[44:45], v[156:157]
	v_add_f64 v[158:159], v[46:47], v[158:159]
	;; [unrolled: 1-line block ×4, first 2 shown]
	v_fma_f64 v[18:19], v[58:59], s[34:35], -v[18:19]
	v_add_f64 v[88:89], v[44:45], v[88:89]
	v_mul_f64 v[134:135], v[66:67], s[8:9]
	v_fma_f64 v[100:101], v[58:59], s[26:27], -v[100:101]
	v_fma_f64 v[180:181], v[58:59], s[20:21], v[104:105]
	v_fma_f64 v[104:105], v[58:59], s[20:21], -v[104:105]
	v_fma_f64 v[184:185], v[60:61], s[34:35], v[112:113]
	v_fma_f64 v[186:187], v[62:63], s[30:31], v[114:115]
	;; [unrolled: 1-line block ×5, first 2 shown]
	v_add_f64 v[84:85], v[44:45], v[84:85]
	v_add_f64 v[164:165], v[44:45], v[164:165]
	;; [unrolled: 1-line block ×6, first 2 shown]
	v_mul_f64 v[128:129], v[68:69], s[22:23]
	v_fma_f64 v[116:117], v[60:61], s[14:15], -v[116:117]
	v_add_f64 v[4:5], v[4:5], v[24:25]
	v_add_f64 v[6:7], v[6:7], v[26:27]
	v_fma_f64 v[24:25], v[8:9], s[22:23], v[106:107]
	v_fma_f64 v[106:107], v[8:9], s[0:1], v[40:41]
	;; [unrolled: 1-line block ×3, first 2 shown]
	v_add_f64 v[16:17], v[44:45], v[16:17]
	v_add_f64 v[80:81], v[44:45], v[80:81]
	;; [unrolled: 1-line block ×4, first 2 shown]
	v_fma_f64 v[26:27], v[58:59], s[8:9], v[38:39]
	v_fma_f64 v[38:39], v[58:59], s[8:9], -v[38:39]
	v_fma_f64 v[40:41], v[60:61], s[20:21], v[108:109]
	v_fma_f64 v[58:59], v[62:63], s[22:23], v[110:111]
	;; [unrolled: 1-line block ×3, first 2 shown]
	v_add_f64 v[44:45], v[46:47], v[94:95]
	v_fma_f64 v[108:109], v[60:61], s[20:21], -v[108:109]
	v_add_f64 v[162:163], v[46:47], v[162:163]
	v_add_f64 v[86:87], v[46:47], v[86:87]
	v_mul_f64 v[130:131], v[66:67], s[20:21]
	v_mul_f64 v[136:137], v[68:69], s[30:31]
	v_add_f64 v[18:19], v[18:19], v[88:89]
	v_mul_f64 v[68:69], v[68:69], s[16:17]
	v_fma_f64 v[112:113], v[60:61], s[34:35], -v[112:113]
	v_fma_f64 v[114:115], v[62:63], s[36:37], v[114:115]
	v_add_f64 v[166:167], v[46:47], v[166:167]
	v_fma_f64 v[94:95], v[62:63], s[0:1], v[122:123]
	v_mul_f64 v[138:139], v[66:67], s[34:35]
	v_mul_f64 v[66:67], v[66:67], s[14:15]
	v_add_f64 v[84:85], v[100:101], v[84:85]
	v_add_f64 v[88:89], v[180:181], v[164:165]
	;; [unrolled: 1-line block ×3, first 2 shown]
	v_fma_f64 v[192:193], v[64:65], s[20:21], v[128:129]
	v_fma_f64 v[128:129], v[64:65], s[20:21], -v[128:129]
	v_add_f64 v[4:5], v[4:5], v[28:29]
	v_add_f64 v[6:7], v[6:7], v[30:31]
	;; [unrolled: 1-line block ×3, first 2 shown]
	v_fma_f64 v[30:31], v[60:61], s[8:9], v[120:121]
	v_fma_f64 v[46:47], v[62:63], s[10:11], v[122:123]
	v_add_f64 v[16:17], v[34:35], v[16:17]
	v_add_f64 v[34:35], v[96:97], v[80:81]
	;; [unrolled: 1-line block ×8, first 2 shown]
	v_fma_f64 v[74:75], v[60:61], s[8:9], -v[120:121]
	v_fma_f64 v[120:121], v[60:61], s[26:27], v[14:15]
	v_fma_f64 v[122:123], v[62:63], s[28:29], v[42:43]
	v_fma_f64 v[14:15], v[60:61], s[26:27], -v[14:15]
	v_fma_f64 v[42:43], v[62:63], s[24:25], v[42:43]
	v_fma_f64 v[60:61], v[64:65], s[26:27], v[124:125]
	;; [unrolled: 1-line block ×4, first 2 shown]
	v_add_f64 v[104:105], v[106:107], v[170:171]
	v_add_f64 v[24:25], v[24:25], v[44:45]
	v_fma_f64 v[44:45], v[70:71], s[0:1], v[134:135]
	v_fma_f64 v[124:125], v[64:65], s[26:27], -v[124:125]
	v_add_f64 v[100:101], v[178:179], v[162:163]
	v_add_f64 v[36:37], v[38:39], v[36:37]
	v_add_f64 v[10:11], v[10:11], v[86:87]
	v_fma_f64 v[38:39], v[64:65], s[8:9], -v[132:133]
	v_add_f64 v[18:19], v[116:117], v[18:19]
	v_fma_f64 v[194:195], v[70:71], s[18:19], v[130:131]
	v_fma_f64 v[90:91], v[64:65], s[34:35], -v[136:137]
	v_fma_f64 v[106:107], v[64:65], s[14:15], v[68:69]
	v_fma_f64 v[130:131], v[70:71], s[22:23], v[130:131]
	;; [unrolled: 1-line block ×4, first 2 shown]
	v_add_f64 v[156:157], v[182:183], v[166:167]
	v_add_f64 v[26:27], v[26:27], v[168:169]
	;; [unrolled: 1-line block ×4, first 2 shown]
	v_fma_f64 v[22:23], v[64:65], s[8:9], v[132:133]
	v_add_f64 v[20:21], v[56:57], v[28:29]
	v_fma_f64 v[56:57], v[64:65], s[34:35], v[136:137]
	v_add_f64 v[16:17], v[40:41], v[16:17]
	v_add_f64 v[34:35], v[108:109], v[34:35]
	;; [unrolled: 1-line block ×6, first 2 shown]
	v_fma_f64 v[64:65], v[64:65], s[14:15], -v[68:69]
	v_add_f64 v[32:33], v[118:119], v[32:33]
	v_fma_f64 v[68:69], v[72:73], s[34:35], v[140:141]
	v_fma_f64 v[136:137], v[76:77], s[30:31], v[142:143]
	v_add_f64 v[30:31], v[30:31], v[88:89]
	v_add_f64 v[74:75], v[74:75], v[92:93]
	v_fma_f64 v[92:93], v[72:73], s[26:27], v[148:149]
	v_fma_f64 v[28:29], v[70:71], s[10:11], v[134:135]
	;; [unrolled: 1-line block ×4, first 2 shown]
	v_add_f64 v[88:89], v[122:123], v[104:105]
	v_fma_f64 v[104:105], v[76:77], s[24:25], v[150:151]
	v_fma_f64 v[70:71], v[76:77], s[36:37], v[142:143]
	v_add_f64 v[8:9], v[42:43], v[8:9]
	v_add_f64 v[98:99], v[190:191], v[100:101]
	v_add_f64 v[14:15], v[14:15], v[36:37]
	v_add_f64 v[24:25], v[94:95], v[24:25]
	v_add_f64 v[10:11], v[114:115], v[10:11]
	v_fma_f64 v[36:37], v[76:77], s[0:1], v[146:147]
	v_fma_f64 v[94:95], v[76:77], s[28:29], v[150:151]
	v_fma_f64 v[100:101], v[72:73], s[26:27], -v[148:149]
	v_fma_f64 v[110:111], v[76:77], s[12:13], v[154:155]
	v_fma_f64 v[114:115], v[76:77], s[16:17], v[154:155]
	;; [unrolled: 1-line block ×3, first 2 shown]
	v_add_f64 v[38:39], v[38:39], v[18:19]
	v_add_f64 v[46:47], v[46:47], v[156:157]
	;; [unrolled: 1-line block ×7, first 2 shown]
	v_fma_f64 v[20:21], v[72:73], s[8:9], v[144:145]
	v_add_f64 v[6:7], v[60:61], v[16:17]
	v_fma_f64 v[58:59], v[76:77], s[10:11], v[146:147]
	v_add_f64 v[16:17], v[126:127], v[40:41]
	;; [unrolled: 2-line block ×3, first 2 shown]
	v_add_f64 v[22:23], v[22:23], v[96:97]
	v_add_f64 v[34:35], v[192:193], v[80:81]
	;; [unrolled: 1-line block ×4, first 2 shown]
	v_fma_f64 v[108:109], v[72:73], s[14:15], v[152:153]
	v_add_f64 v[30:31], v[56:57], v[30:31]
	v_fma_f64 v[134:135], v[72:73], s[34:35], -v[140:141]
	v_fma_f64 v[42:43], v[72:73], s[8:9], -v[144:145]
	;; [unrolled: 1-line block ×3, first 2 shown]
	v_fma_f64 v[116:117], v[72:73], s[20:21], v[78:79]
	v_fma_f64 v[72:73], v[72:73], s[20:21], -v[78:79]
	v_add_f64 v[56:57], v[90:91], v[74:75]
	v_add_f64 v[78:79], v[132:133], v[88:89]
	s_mul_i32 s0, s5, 0xa50
	s_mul_hi_u32 s1, s4, 0xa50
	v_add_f64 v[28:29], v[28:29], v[98:99]
	v_add_f64 v[14:15], v[64:65], v[14:15]
	;; [unrolled: 1-line block ×16, first 2 shown]
	scratch_load_b64 v[32:33], off, off offset:84 ; 8-byte Folded Reload
	v_add_f64 v[20:21], v[100:101], v[38:39]
	scratch_load_b32 v38, off, off offset:80 ; 4-byte Folded Reload
	v_add_f64 v[10:11], v[36:37], v[40:41]
	v_add_f64 v[24:25], v[108:109], v[30:31]
	v_add_f64 v[4:5], v[134:135], v[12:13]
	v_add_f64 v[18:19], v[94:95], v[28:29]
	v_add_f64 v[28:29], v[112:113], v[56:57]
	v_add_f64 v[54:55], v[72:73], v[14:15]
	v_add_f64 v[56:57], v[76:77], v[64:65]
	v_add_f64 v[30:31], v[114:115], v[66:67]
	v_add_f64 v[14:15], v[58:59], v[80:81]
	v_add_f64 v[26:27], v[110:111], v[46:47]
	v_add_f64 v[44:45], v[116:117], v[74:75]
	v_add_f64 v[46:47], v[118:119], v[78:79]
	v_add_f64 v[50:51], v[2:3], v[52:53]
	v_add_f64 v[12:13], v[42:43], v[60:61]
	v_add_f64 v[52:53], v[82:83], v[48:49]
	v_add_f64 v[2:3], v[70:71], v[62:63]
	ds_store_b128 v255, v[8:11] offset:5280
	ds_store_b128 v255, v[16:19] offset:7920
	;; [unrolled: 1-line block ×9, first 2 shown]
	ds_store_b128 v255, v[50:53]
	ds_store_b128 v255, v[0:3] offset:2640
	s_waitcnt vmcnt(0) lgkmcnt(0)
	s_barrier
	buffer_gl0_inv
	ds_load_b128 v[0:3], v255
	ds_load_b128 v[4:7], v255 offset:2640
	ds_load_b128 v[8:11], v255 offset:5280
	;; [unrolled: 1-line block ×7, first 2 shown]
	v_mov_b32_e32 v36, v32
	v_mad_u64_u32 v[34:35], null, s4, v38, 0
	s_delay_alu instid0(VALU_DEP_2) | instskip(NEXT) | instid1(VALU_DEP_1)
	v_mad_u64_u32 v[32:33], null, s6, v36, 0
	v_mad_u64_u32 v[24:25], null, s7, v36, v[33:34]
	s_delay_alu instid0(VALU_DEP_3) | instskip(NEXT) | instid1(VALU_DEP_2)
	v_mad_u64_u32 v[36:37], null, s5, v38, v[35:36]
	v_mov_b32_e32 v33, v24
	ds_load_b128 v[24:27], v255 offset:15840
	ds_load_b128 v[48:51], v255 offset:23760
	;; [unrolled: 1-line block ×3, first 2 shown]
	s_clause 0x3
	scratch_load_b128 v[96:99], off, off offset:48
	scratch_load_b128 v[104:107], off, off offset:108
	;; [unrolled: 1-line block ×4, first 2 shown]
	v_mov_b32_e32 v35, v36
	v_lshlrev_b64 v[32:33], 4, v[32:33]
	s_delay_alu instid0(VALU_DEP_2) | instskip(NEXT) | instid1(VALU_DEP_2)
	v_lshlrev_b64 v[34:35], 4, v[34:35]
	v_add_co_u32 v32, vcc_lo, s2, v32
	s_delay_alu instid0(VALU_DEP_3) | instskip(SKIP_1) | instid1(VALU_DEP_2)
	v_add_co_ci_u32_e32 v33, vcc_lo, s3, v33, vcc_lo
	s_mul_i32 s2, s4, 0xa50
	v_add_co_u32 v92, vcc_lo, v32, v34
	s_delay_alu instid0(VALU_DEP_2) | instskip(SKIP_1) | instid1(VALU_DEP_2)
	v_add_co_ci_u32_e32 v93, vcc_lo, v33, v35, vcc_lo
	s_add_i32 s3, s1, s0
	v_add_co_u32 v94, vcc_lo, v92, s2
	s_delay_alu instid0(VALU_DEP_2)
	v_add_co_ci_u32_e32 v95, vcc_lo, s3, v93, vcc_lo
	s_mov_b32 s0, 0x953a4099
	s_mov_b32 s1, 0x3f420dd2
	s_waitcnt vmcnt(3) lgkmcnt(10)
	v_mul_f64 v[36:37], v[98:99], v[2:3]
	v_mul_f64 v[38:39], v[98:99], v[0:1]
	scratch_load_b128 v[98:101], off, off offset:64 ; 16-byte Folded Reload
	s_waitcnt vmcnt(3) lgkmcnt(8)
	v_mul_f64 v[56:57], v[106:107], v[10:11]
	v_mul_f64 v[58:59], v[106:107], v[8:9]
	scratch_load_b128 v[106:109], off, off offset:124 ; 16-byte Folded Reload
	s_waitcnt vmcnt(3) lgkmcnt(5)
	v_mul_f64 v[68:69], v[114:115], v[22:23]
	v_mul_f64 v[70:71], v[114:115], v[20:21]
	scratch_load_b128 v[114:117], off, off offset:172 ; 16-byte Folded Reload
	s_waitcnt vmcnt(3) lgkmcnt(4)
	v_mul_f64 v[80:81], v[122:123], v[46:47]
	v_mul_f64 v[82:83], v[122:123], v[44:45]
	scratch_load_b128 v[122:125], off, off offset:220 ; 16-byte Folded Reload
	v_fma_f64 v[0:1], v[96:97], v[0:1], v[36:37]
	v_fma_f64 v[2:3], v[96:97], v[2:3], -v[38:39]
	v_fma_f64 v[8:9], v[104:105], v[8:9], v[56:57]
	v_fma_f64 v[10:11], v[104:105], v[10:11], -v[58:59]
	;; [unrolled: 2-line block ×4, first 2 shown]
	v_add_co_u32 v44, vcc_lo, v94, s2
	v_add_co_ci_u32_e32 v45, vcc_lo, s3, v95, vcc_lo
	s_delay_alu instid0(VALU_DEP_2) | instskip(NEXT) | instid1(VALU_DEP_2)
	v_add_co_u32 v46, vcc_lo, v44, s2
	v_add_co_ci_u32_e32 v47, vcc_lo, s3, v45, vcc_lo
	v_mul_f64 v[0:1], v[0:1], s[0:1]
	v_mul_f64 v[2:3], v[2:3], s[0:1]
	;; [unrolled: 1-line block ×8, first 2 shown]
	s_waitcnt vmcnt(3)
	v_mul_f64 v[40:41], v[100:101], v[6:7]
	v_mul_f64 v[42:43], v[100:101], v[4:5]
	scratch_load_b128 v[100:103], off, off offset:92 ; 16-byte Folded Reload
	s_waitcnt vmcnt(3)
	v_mul_f64 v[64:65], v[108:109], v[18:19]
	v_mul_f64 v[66:67], v[108:109], v[16:17]
	scratch_load_b128 v[108:111], off, off offset:140 ; 16-byte Folded Reload
	s_waitcnt vmcnt(3) lgkmcnt(3)
	v_mul_f64 v[76:77], v[116:117], v[30:31]
	v_mul_f64 v[78:79], v[116:117], v[28:29]
	scratch_load_b128 v[116:119], off, off offset:188 ; 16-byte Folded Reload
	s_waitcnt vmcnt(3) lgkmcnt(0)
	v_mul_f64 v[88:89], v[124:125], v[54:55]
	v_mul_f64 v[90:91], v[124:125], v[52:53]
	v_fma_f64 v[4:5], v[98:99], v[4:5], v[40:41]
	v_fma_f64 v[6:7], v[98:99], v[6:7], -v[42:43]
	v_fma_f64 v[16:17], v[106:107], v[16:17], v[64:65]
	v_fma_f64 v[18:19], v[106:107], v[18:19], -v[66:67]
	;; [unrolled: 2-line block ×4, first 2 shown]
	v_mul_f64 v[4:5], v[4:5], s[0:1]
	v_mul_f64 v[6:7], v[6:7], s[0:1]
	;; [unrolled: 1-line block ×8, first 2 shown]
	s_waitcnt vmcnt(2)
	v_mul_f64 v[60:61], v[102:103], v[14:15]
	v_mul_f64 v[62:63], v[102:103], v[12:13]
	s_waitcnt vmcnt(1)
	v_mul_f64 v[72:73], v[110:111], v[26:27]
	v_mul_f64 v[74:75], v[110:111], v[24:25]
	s_waitcnt vmcnt(0)
	v_mul_f64 v[84:85], v[118:119], v[50:51]
	v_mul_f64 v[86:87], v[118:119], v[48:49]
	v_fma_f64 v[12:13], v[100:101], v[12:13], v[60:61]
	v_fma_f64 v[14:15], v[100:101], v[14:15], -v[62:63]
	v_fma_f64 v[24:25], v[108:109], v[24:25], v[72:73]
	v_fma_f64 v[26:27], v[108:109], v[26:27], -v[74:75]
	;; [unrolled: 2-line block ×3, first 2 shown]
	v_add_co_u32 v48, vcc_lo, v46, s2
	v_add_co_ci_u32_e32 v49, vcc_lo, s3, v47, vcc_lo
	s_delay_alu instid0(VALU_DEP_2) | instskip(NEXT) | instid1(VALU_DEP_2)
	v_add_co_u32 v50, vcc_lo, v48, s2
	v_add_co_ci_u32_e32 v51, vcc_lo, s3, v49, vcc_lo
	s_delay_alu instid0(VALU_DEP_2) | instskip(NEXT) | instid1(VALU_DEP_2)
	;; [unrolled: 3-line block ×5, first 2 shown]
	v_add_co_u32 v58, vcc_lo, v56, s2
	v_add_co_ci_u32_e32 v59, vcc_lo, s3, v57, vcc_lo
	v_mul_f64 v[12:13], v[12:13], s[0:1]
	v_mul_f64 v[14:15], v[14:15], s[0:1]
	s_delay_alu instid0(VALU_DEP_4)
	v_add_co_u32 v60, vcc_lo, v58, s2
	v_mul_f64 v[24:25], v[24:25], s[0:1]
	v_mul_f64 v[26:27], v[26:27], s[0:1]
	v_mul_f64 v[36:37], v[36:37], s[0:1]
	v_mul_f64 v[38:39], v[38:39], s[0:1]
	v_add_co_ci_u32_e32 v61, vcc_lo, s3, v59, vcc_lo
	s_clause 0x4
	global_store_b128 v[92:93], v[0:3], off
	global_store_b128 v[94:95], v[4:7], off
	;; [unrolled: 1-line block ×11, first 2 shown]
.LBB0_18:
	s_nop 0
	s_sendmsg sendmsg(MSG_DEALLOC_VGPRS)
	s_endpgm
	.section	.rodata,"a",@progbits
	.p2align	6, 0x0
	.amdhsa_kernel bluestein_single_back_len1815_dim1_dp_op_CI_CI
		.amdhsa_group_segment_fixed_size 29040
		.amdhsa_private_segment_fixed_size 280
		.amdhsa_kernarg_size 104
		.amdhsa_user_sgpr_count 15
		.amdhsa_user_sgpr_dispatch_ptr 0
		.amdhsa_user_sgpr_queue_ptr 0
		.amdhsa_user_sgpr_kernarg_segment_ptr 1
		.amdhsa_user_sgpr_dispatch_id 0
		.amdhsa_user_sgpr_private_segment_size 0
		.amdhsa_wavefront_size32 1
		.amdhsa_uses_dynamic_stack 0
		.amdhsa_enable_private_segment 1
		.amdhsa_system_sgpr_workgroup_id_x 1
		.amdhsa_system_sgpr_workgroup_id_y 0
		.amdhsa_system_sgpr_workgroup_id_z 0
		.amdhsa_system_sgpr_workgroup_info 0
		.amdhsa_system_vgpr_workitem_id 0
		.amdhsa_next_free_vgpr 256
		.amdhsa_next_free_sgpr 40
		.amdhsa_reserve_vcc 1
		.amdhsa_float_round_mode_32 0
		.amdhsa_float_round_mode_16_64 0
		.amdhsa_float_denorm_mode_32 3
		.amdhsa_float_denorm_mode_16_64 3
		.amdhsa_dx10_clamp 1
		.amdhsa_ieee_mode 1
		.amdhsa_fp16_overflow 0
		.amdhsa_workgroup_processor_mode 1
		.amdhsa_memory_ordered 1
		.amdhsa_forward_progress 0
		.amdhsa_shared_vgpr_count 0
		.amdhsa_exception_fp_ieee_invalid_op 0
		.amdhsa_exception_fp_denorm_src 0
		.amdhsa_exception_fp_ieee_div_zero 0
		.amdhsa_exception_fp_ieee_overflow 0
		.amdhsa_exception_fp_ieee_underflow 0
		.amdhsa_exception_fp_ieee_inexact 0
		.amdhsa_exception_int_div_zero 0
	.end_amdhsa_kernel
	.text
.Lfunc_end0:
	.size	bluestein_single_back_len1815_dim1_dp_op_CI_CI, .Lfunc_end0-bluestein_single_back_len1815_dim1_dp_op_CI_CI
                                        ; -- End function
	.section	.AMDGPU.csdata,"",@progbits
; Kernel info:
; codeLenInByte = 23204
; NumSgprs: 42
; NumVgprs: 256
; ScratchSize: 280
; MemoryBound: 0
; FloatMode: 240
; IeeeMode: 1
; LDSByteSize: 29040 bytes/workgroup (compile time only)
; SGPRBlocks: 5
; VGPRBlocks: 31
; NumSGPRsForWavesPerEU: 42
; NumVGPRsForWavesPerEU: 256
; Occupancy: 5
; WaveLimiterHint : 1
; COMPUTE_PGM_RSRC2:SCRATCH_EN: 1
; COMPUTE_PGM_RSRC2:USER_SGPR: 15
; COMPUTE_PGM_RSRC2:TRAP_HANDLER: 0
; COMPUTE_PGM_RSRC2:TGID_X_EN: 1
; COMPUTE_PGM_RSRC2:TGID_Y_EN: 0
; COMPUTE_PGM_RSRC2:TGID_Z_EN: 0
; COMPUTE_PGM_RSRC2:TIDIG_COMP_CNT: 0
	.text
	.p2alignl 7, 3214868480
	.fill 96, 4, 3214868480
	.type	__hip_cuid_16a18c878811f7a6,@object ; @__hip_cuid_16a18c878811f7a6
	.section	.bss,"aw",@nobits
	.globl	__hip_cuid_16a18c878811f7a6
__hip_cuid_16a18c878811f7a6:
	.byte	0                               ; 0x0
	.size	__hip_cuid_16a18c878811f7a6, 1

	.ident	"AMD clang version 19.0.0git (https://github.com/RadeonOpenCompute/llvm-project roc-6.4.0 25133 c7fe45cf4b819c5991fe208aaa96edf142730f1d)"
	.section	".note.GNU-stack","",@progbits
	.addrsig
	.addrsig_sym __hip_cuid_16a18c878811f7a6
	.amdgpu_metadata
---
amdhsa.kernels:
  - .args:
      - .actual_access:  read_only
        .address_space:  global
        .offset:         0
        .size:           8
        .value_kind:     global_buffer
      - .actual_access:  read_only
        .address_space:  global
        .offset:         8
        .size:           8
        .value_kind:     global_buffer
      - .actual_access:  read_only
        .address_space:  global
        .offset:         16
        .size:           8
        .value_kind:     global_buffer
      - .actual_access:  read_only
        .address_space:  global
        .offset:         24
        .size:           8
        .value_kind:     global_buffer
      - .actual_access:  read_only
        .address_space:  global
        .offset:         32
        .size:           8
        .value_kind:     global_buffer
      - .offset:         40
        .size:           8
        .value_kind:     by_value
      - .address_space:  global
        .offset:         48
        .size:           8
        .value_kind:     global_buffer
      - .address_space:  global
        .offset:         56
        .size:           8
        .value_kind:     global_buffer
      - .address_space:  global
        .offset:         64
        .size:           8
        .value_kind:     global_buffer
      - .address_space:  global
        .offset:         72
        .size:           8
        .value_kind:     global_buffer
      - .offset:         80
        .size:           4
        .value_kind:     by_value
      - .address_space:  global
        .offset:         88
        .size:           8
        .value_kind:     global_buffer
      - .address_space:  global
        .offset:         96
        .size:           8
        .value_kind:     global_buffer
    .group_segment_fixed_size: 29040
    .kernarg_segment_align: 8
    .kernarg_segment_size: 104
    .language:       OpenCL C
    .language_version:
      - 2
      - 0
    .max_flat_workgroup_size: 165
    .name:           bluestein_single_back_len1815_dim1_dp_op_CI_CI
    .private_segment_fixed_size: 280
    .sgpr_count:     42
    .sgpr_spill_count: 0
    .symbol:         bluestein_single_back_len1815_dim1_dp_op_CI_CI.kd
    .uniform_work_group_size: 1
    .uses_dynamic_stack: false
    .vgpr_count:     256
    .vgpr_spill_count: 81
    .wavefront_size: 32
    .workgroup_processor_mode: 1
amdhsa.target:   amdgcn-amd-amdhsa--gfx1100
amdhsa.version:
  - 1
  - 2
...

	.end_amdgpu_metadata
